;; amdgpu-corpus repo=ROCm/rocFFT kind=compiled arch=gfx1030 opt=O3
	.text
	.amdgcn_target "amdgcn-amd-amdhsa--gfx1030"
	.amdhsa_code_object_version 6
	.protected	bluestein_single_back_len3240_dim1_dp_op_CI_CI ; -- Begin function bluestein_single_back_len3240_dim1_dp_op_CI_CI
	.globl	bluestein_single_back_len3240_dim1_dp_op_CI_CI
	.p2align	8
	.type	bluestein_single_back_len3240_dim1_dp_op_CI_CI,@function
bluestein_single_back_len3240_dim1_dp_op_CI_CI: ; @bluestein_single_back_len3240_dim1_dp_op_CI_CI
; %bb.0:
	s_load_dwordx4 s[12:15], s[4:5], 0x28
	v_mul_u32_u24_e32 v1, 0x25f, v0
	s_mov_b64 s[30:31], s[2:3]
	s_mov_b64 s[28:29], s[0:1]
	v_mov_b32_e32 v2, 0
	s_add_u32 s28, s28, s7
	v_lshrrev_b32_e32 v3, 16, v1
	s_addc_u32 s29, s29, 0
	s_mov_b32 s0, exec_lo
	v_add_nc_u32_e32 v1, s6, v3
	s_waitcnt lgkmcnt(0)
	v_cmpx_gt_u64_e64 s[12:13], v[1:2]
	s_cbranch_execz .LBB0_2
; %bb.1:
	s_clause 0x2
	s_load_dwordx4 s[8:11], s[4:5], 0x0
	s_load_dwordx4 s[16:19], s[4:5], 0x18
	s_load_dwordx2 s[12:13], s[4:5], 0x38
	v_mul_lo_u16 v2, 0x6c, v3
	v_mov_b32_e32 v189, 4
	v_mov_b32_e32 v190, 0xaaab
	s_mov_b32 s20, 0x9b97f4a8
	s_mov_b32 s21, 0x3fe9e377
	v_sub_nc_u16 v188, v0, v2
	s_mov_b32 s23, 0xbfd3c6ef
	s_mov_b32 s25, 0xbfe9e377
	;; [unrolled: 1-line block ×3, first 2 shown]
	v_and_b32_e32 v6, 0xffff, v188
	v_and_b32_e32 v170, 0xff, v188
	v_lshlrev_b32_e32 v120, 4, v6
	v_mov_b32_e32 v12, v6
	s_waitcnt lgkmcnt(0)
	s_load_dwordx4 s[0:3], s[18:19], 0x0
	s_mov_b32 s19, 0xbfe2cf23
	v_add_co_u32 v164, null, 0x6c, v12
	v_and_b32_e32 v168, 0xff, v164
	s_waitcnt lgkmcnt(0)
	v_mad_u64_u32 v[4:5], null, s2, v1, 0
	v_add_co_u32 v121, s2, s8, v120
	v_add_co_ci_u32_e64 v162, null, s9, 0, s2
	v_mov_b32_e32 v0, v5
	v_mad_u64_u32 v[2:3], null, s3, v1, v[0:1]
	v_mov_b32_e32 v5, v2
	buffer_store_dword v4, off, s[28:31], 0 ; 4-byte Folded Spill
	buffer_store_dword v5, off, s[28:31], 0 offset:4 ; 4-byte Folded Spill
	global_load_dwordx4 v[13:16], v120, s[8:9]
	s_load_dwordx4 s[4:7], s[16:17], 0x0
	s_mov_b32 s17, 0xbfee6f0e
	s_waitcnt lgkmcnt(0)
	v_mad_u64_u32 v[2:3], null, s6, v1, 0
	s_mul_i32 s2, s5, 0x4380
	s_mul_hi_u32 s3, s4, 0x4380
	s_mul_hi_u32 s6, s4, 0xffff7fc0
	s_add_i32 s2, s3, s2
	s_mul_i32 s3, s4, 0x4380
	s_sub_i32 s6, s6, s4
	v_mov_b32_e32 v0, v3
	v_mad_u64_u32 v[0:1], null, s7, v1, v[0:1]
	v_mov_b32_e32 v3, v0
	v_mad_u64_u32 v[0:1], null, s4, v6, 0
	s_mul_i32 s4, s4, 0xffff7fc0
	v_mad_u64_u32 v[4:5], null, s5, v6, v[1:2]
	v_lshlrev_b64 v[2:3], 4, v[2:3]
	s_mul_i32 s5, s5, 0xffff7fc0
	s_add_i32 s5, s6, s5
	v_mov_b32_e32 v1, v4
	v_add_co_u32 v2, vcc_lo, s14, v2
	v_add_co_ci_u32_e32 v3, vcc_lo, s15, v3, vcc_lo
	v_lshlrev_b64 v[0:1], 4, v[0:1]
	s_mov_b32 s14, 0x372fe950
	s_mov_b32 s15, 0x3fd3c6ef
	;; [unrolled: 1-line block ×3, first 2 shown]
	v_add_co_u32 v8, vcc_lo, v2, v0
	v_add_co_ci_u32_e32 v9, vcc_lo, v3, v1, vcc_lo
	global_load_dwordx4 v[0:3], v[8:9], off
	v_add_co_u32 v8, vcc_lo, v8, s3
	v_add_co_ci_u32_e32 v9, vcc_lo, s2, v9, vcc_lo
	s_waitcnt vmcnt(1)
	buffer_store_dword v13, off, s[28:31], 0 offset:40 ; 4-byte Folded Spill
	buffer_store_dword v14, off, s[28:31], 0 offset:44 ; 4-byte Folded Spill
	;; [unrolled: 1-line block ×4, first 2 shown]
	s_waitcnt vmcnt(0)
	v_mul_f64 v[4:5], v[2:3], v[15:16]
	v_fma_f64 v[4:5], v[0:1], v[13:14], v[4:5]
	v_mul_f64 v[0:1], v[0:1], v[15:16]
	v_fma_f64 v[6:7], v[2:3], v[13:14], -v[0:1]
	global_load_dwordx4 v[0:3], v[8:9], off
	ds_write_b128 v120, v[4:7]
	v_add_co_u32 v4, vcc_lo, 0x4000, v121
	v_add_co_ci_u32_e32 v5, vcc_lo, 0, v162, vcc_lo
	v_add_co_u32 v10, vcc_lo, v8, s3
	v_add_co_ci_u32_e32 v11, vcc_lo, s2, v9, vcc_lo
	global_load_dwordx4 v[13:16], v[4:5], off offset:896
	s_waitcnt vmcnt(0)
	buffer_store_dword v13, off, s[28:31], 0 offset:24 ; 4-byte Folded Spill
	buffer_store_dword v14, off, s[28:31], 0 offset:28 ; 4-byte Folded Spill
	;; [unrolled: 1-line block ×4, first 2 shown]
	v_mul_f64 v[4:5], v[2:3], v[15:16]
	v_fma_f64 v[4:5], v[0:1], v[13:14], v[4:5]
	v_mul_f64 v[0:1], v[0:1], v[15:16]
	v_fma_f64 v[6:7], v[2:3], v[13:14], -v[0:1]
	v_add_co_u32 v0, vcc_lo, 0x8000, v121
	v_add_co_ci_u32_e32 v1, vcc_lo, 0, v162, vcc_lo
	global_load_dwordx4 v[13:16], v[0:1], off offset:1792
	ds_write_b128 v120, v[4:7] offset:17280
	global_load_dwordx4 v[2:5], v[10:11], off
	v_add_co_u32 v10, vcc_lo, v10, s4
	v_add_co_ci_u32_e32 v11, vcc_lo, s5, v11, vcc_lo
	s_waitcnt vmcnt(1)
	buffer_store_dword v13, off, s[28:31], 0 offset:8 ; 4-byte Folded Spill
	buffer_store_dword v14, off, s[28:31], 0 offset:12 ; 4-byte Folded Spill
	;; [unrolled: 1-line block ×4, first 2 shown]
	s_waitcnt vmcnt(0)
	v_mul_f64 v[6:7], v[4:5], v[15:16]
	v_fma_f64 v[6:7], v[2:3], v[13:14], v[6:7]
	v_mul_f64 v[2:3], v[2:3], v[15:16]
	v_mov_b32_e32 v16, v12
	v_add_co_u32 v165, null, 0xd8, v16
	v_add_co_u32 v166, null, 0x144, v16
	;; [unrolled: 1-line block ×8, first 2 shown]
	v_fma_f64 v[8:9], v[4:5], v[13:14], -v[2:3]
	v_mov_b32_e32 v191, v16
	v_mov_b32_e32 v215, v191
	ds_write_b128 v120, v[6:9] offset:34560
	global_load_dwordx4 v[2:5], v[10:11], off
	global_load_dwordx4 v[12:15], v120, s[8:9] offset:1728
	v_add_co_u32 v10, vcc_lo, v10, s3
	v_add_co_ci_u32_e32 v11, vcc_lo, s2, v11, vcc_lo
	s_mov_b32 s8, 0x4755a5e
	s_mov_b32 s9, 0x3fe2cf23
	;; [unrolled: 1-line block ×3, first 2 shown]
	s_waitcnt vmcnt(0)
	buffer_store_dword v12, off, s[28:31], 0 offset:72 ; 4-byte Folded Spill
	buffer_store_dword v13, off, s[28:31], 0 offset:76 ; 4-byte Folded Spill
	buffer_store_dword v14, off, s[28:31], 0 offset:80 ; 4-byte Folded Spill
	buffer_store_dword v15, off, s[28:31], 0 offset:84 ; 4-byte Folded Spill
	v_mul_f64 v[6:7], v[4:5], v[14:15]
	v_fma_f64 v[6:7], v[2:3], v[12:13], v[6:7]
	v_mul_f64 v[2:3], v[2:3], v[14:15]
	v_fma_f64 v[8:9], v[4:5], v[12:13], -v[2:3]
	global_load_dwordx4 v[2:5], v[10:11], off
	ds_write_b128 v120, v[6:9] offset:1728
	v_add_co_u32 v6, vcc_lo, 0x4800, v121
	v_add_co_ci_u32_e32 v7, vcc_lo, 0, v162, vcc_lo
	v_add_co_u32 v10, vcc_lo, v10, s3
	v_add_co_ci_u32_e32 v11, vcc_lo, s2, v11, vcc_lo
	global_load_dwordx4 v[12:15], v[6:7], off offset:576
	s_waitcnt vmcnt(0)
	buffer_store_dword v12, off, s[28:31], 0 offset:88 ; 4-byte Folded Spill
	buffer_store_dword v13, off, s[28:31], 0 offset:92 ; 4-byte Folded Spill
	buffer_store_dword v14, off, s[28:31], 0 offset:96 ; 4-byte Folded Spill
	buffer_store_dword v15, off, s[28:31], 0 offset:100 ; 4-byte Folded Spill
	v_mul_f64 v[6:7], v[4:5], v[14:15]
	v_fma_f64 v[6:7], v[2:3], v[12:13], v[6:7]
	v_mul_f64 v[2:3], v[2:3], v[14:15]
	v_fma_f64 v[8:9], v[4:5], v[12:13], -v[2:3]
	global_load_dwordx4 v[2:5], v[10:11], off
	ds_write_b128 v120, v[6:9] offset:19008
	v_add_co_u32 v6, vcc_lo, 0x8800, v121
	v_add_co_ci_u32_e32 v7, vcc_lo, 0, v162, vcc_lo
	v_add_co_u32 v10, vcc_lo, v10, s4
	v_add_co_ci_u32_e32 v11, vcc_lo, s5, v11, vcc_lo
	global_load_dwordx4 v[12:15], v[6:7], off offset:1472
	;; [unrolled: 16-line block ×3, first 2 shown]
	s_waitcnt vmcnt(0)
	buffer_store_dword v12, off, s[28:31], 0 offset:120 ; 4-byte Folded Spill
	buffer_store_dword v13, off, s[28:31], 0 offset:124 ; 4-byte Folded Spill
	;; [unrolled: 1-line block ×4, first 2 shown]
	v_mul_f64 v[6:7], v[4:5], v[14:15]
	v_fma_f64 v[6:7], v[2:3], v[12:13], v[6:7]
	v_mul_f64 v[2:3], v[2:3], v[14:15]
	v_fma_f64 v[8:9], v[4:5], v[12:13], -v[2:3]
	v_add_co_u32 v12, vcc_lo, 0x5000, v121
	v_add_co_ci_u32_e32 v13, vcc_lo, 0, v162, vcc_lo
	global_load_dwordx4 v[2:5], v[10:11], off
	v_add_co_u32 v10, vcc_lo, v10, s3
	global_load_dwordx4 v[17:20], v[12:13], off offset:256
	v_add_co_ci_u32_e32 v11, vcc_lo, s2, v11, vcc_lo
	ds_write_b128 v120, v[6:9] offset:3456
	s_waitcnt vmcnt(0)
	buffer_store_dword v17, off, s[28:31], 0 offset:136 ; 4-byte Folded Spill
	buffer_store_dword v18, off, s[28:31], 0 offset:140 ; 4-byte Folded Spill
	buffer_store_dword v19, off, s[28:31], 0 offset:144 ; 4-byte Folded Spill
	buffer_store_dword v20, off, s[28:31], 0 offset:148 ; 4-byte Folded Spill
	v_mul_f64 v[6:7], v[4:5], v[19:20]
	v_fma_f64 v[6:7], v[2:3], v[17:18], v[6:7]
	v_mul_f64 v[2:3], v[2:3], v[19:20]
	v_fma_f64 v[8:9], v[4:5], v[17:18], -v[2:3]
	global_load_dwordx4 v[2:5], v[10:11], off
	ds_write_b128 v120, v[6:9] offset:20736
	v_add_co_u32 v6, vcc_lo, 0x9000, v121
	v_add_co_ci_u32_e32 v7, vcc_lo, 0, v162, vcc_lo
	v_add_co_u32 v10, vcc_lo, v10, s4
	v_add_co_ci_u32_e32 v11, vcc_lo, s5, v11, vcc_lo
	global_load_dwordx4 v[17:20], v[6:7], off offset:1152
	s_waitcnt vmcnt(0)
	buffer_store_dword v17, off, s[28:31], 0 offset:152 ; 4-byte Folded Spill
	buffer_store_dword v18, off, s[28:31], 0 offset:156 ; 4-byte Folded Spill
	;; [unrolled: 1-line block ×4, first 2 shown]
	v_mul_f64 v[6:7], v[4:5], v[19:20]
	v_fma_f64 v[6:7], v[2:3], v[17:18], v[6:7]
	v_mul_f64 v[2:3], v[2:3], v[19:20]
	v_fma_f64 v[8:9], v[4:5], v[17:18], -v[2:3]
	global_load_dwordx4 v[2:5], v[10:11], off
	ds_write_b128 v120, v[6:9] offset:38016
	v_add_co_u32 v6, vcc_lo, 0x1000, v121
	v_add_co_ci_u32_e32 v7, vcc_lo, 0, v162, vcc_lo
	v_add_co_u32 v10, vcc_lo, v10, s3
	v_add_co_ci_u32_e32 v11, vcc_lo, s2, v11, vcc_lo
	global_load_dwordx4 v[17:20], v[6:7], off offset:1088
	s_waitcnt vmcnt(0)
	buffer_store_dword v17, off, s[28:31], 0 offset:184 ; 4-byte Folded Spill
	buffer_store_dword v18, off, s[28:31], 0 offset:188 ; 4-byte Folded Spill
	;; [unrolled: 1-line block ×4, first 2 shown]
	v_mul_f64 v[6:7], v[4:5], v[19:20]
	v_fma_f64 v[6:7], v[2:3], v[17:18], v[6:7]
	v_mul_f64 v[2:3], v[2:3], v[19:20]
	v_fma_f64 v[8:9], v[4:5], v[17:18], -v[2:3]
	ds_write_b128 v120, v[6:9] offset:5184
	global_load_dwordx4 v[2:5], v[10:11], off
	global_load_dwordx4 v[12:15], v[12:13], off offset:1984
	v_add_co_u32 v10, vcc_lo, v10, s3
	v_add_co_ci_u32_e32 v11, vcc_lo, s2, v11, vcc_lo
	s_waitcnt vmcnt(0)
	buffer_store_dword v12, off, s[28:31], 0 offset:168 ; 4-byte Folded Spill
	buffer_store_dword v13, off, s[28:31], 0 offset:172 ; 4-byte Folded Spill
	buffer_store_dword v14, off, s[28:31], 0 offset:176 ; 4-byte Folded Spill
	buffer_store_dword v15, off, s[28:31], 0 offset:180 ; 4-byte Folded Spill
	v_mul_f64 v[6:7], v[4:5], v[14:15]
	v_fma_f64 v[6:7], v[2:3], v[12:13], v[6:7]
	v_mul_f64 v[2:3], v[2:3], v[14:15]
	v_fma_f64 v[8:9], v[4:5], v[12:13], -v[2:3]
	global_load_dwordx4 v[2:5], v[10:11], off
	ds_write_b128 v120, v[6:9] offset:22464
	v_add_co_u32 v6, vcc_lo, 0x9800, v121
	v_add_co_ci_u32_e32 v7, vcc_lo, 0, v162, vcc_lo
	v_add_co_u32 v10, vcc_lo, v10, s4
	v_add_co_ci_u32_e32 v11, vcc_lo, s5, v11, vcc_lo
	global_load_dwordx4 v[12:15], v[6:7], off offset:832
	s_waitcnt vmcnt(0)
	buffer_store_dword v12, off, s[28:31], 0 offset:200 ; 4-byte Folded Spill
	buffer_store_dword v13, off, s[28:31], 0 offset:204 ; 4-byte Folded Spill
	buffer_store_dword v14, off, s[28:31], 0 offset:208 ; 4-byte Folded Spill
	buffer_store_dword v15, off, s[28:31], 0 offset:212 ; 4-byte Folded Spill
	v_mul_f64 v[6:7], v[4:5], v[14:15]
	v_fma_f64 v[6:7], v[2:3], v[12:13], v[6:7]
	v_mul_f64 v[2:3], v[2:3], v[14:15]
	v_fma_f64 v[8:9], v[4:5], v[12:13], -v[2:3]
	global_load_dwordx4 v[2:5], v[10:11], off
	ds_write_b128 v120, v[6:9] offset:39744
	v_add_co_u32 v6, vcc_lo, 0x1800, v121
	v_add_co_ci_u32_e32 v7, vcc_lo, 0, v162, vcc_lo
	v_add_co_u32 v10, vcc_lo, v10, s3
	v_add_co_ci_u32_e32 v11, vcc_lo, s2, v11, vcc_lo
	global_load_dwordx4 v[12:15], v[6:7], off offset:768
	;; [unrolled: 16-line block ×6, first 2 shown]
	s_waitcnt vmcnt(0)
	buffer_store_dword v12, off, s[28:31], 0 offset:280 ; 4-byte Folded Spill
	buffer_store_dword v13, off, s[28:31], 0 offset:284 ; 4-byte Folded Spill
	;; [unrolled: 1-line block ×4, first 2 shown]
	v_mul_f64 v[6:7], v[4:5], v[14:15]
	v_fma_f64 v[6:7], v[2:3], v[12:13], v[6:7]
	v_mul_f64 v[2:3], v[2:3], v[14:15]
	v_fma_f64 v[8:9], v[4:5], v[12:13], -v[2:3]
	v_add_co_u32 v12, vcc_lo, 0xa800, v121
	v_add_co_ci_u32_e32 v13, vcc_lo, 0, v162, vcc_lo
	global_load_dwordx4 v[2:5], v[10:11], off
	v_add_co_u32 v10, vcc_lo, v10, s4
	global_load_dwordx4 v[17:20], v[12:13], off offset:192
	v_add_co_ci_u32_e32 v11, vcc_lo, s5, v11, vcc_lo
	v_add_co_u32 v14, vcc_lo, 0x2800, v121
	v_add_co_ci_u32_e32 v15, vcc_lo, 0, v162, vcc_lo
	ds_write_b128 v120, v[6:9] offset:25920
	s_waitcnt vmcnt(0)
	buffer_store_dword v17, off, s[28:31], 0 offset:296 ; 4-byte Folded Spill
	buffer_store_dword v18, off, s[28:31], 0 offset:300 ; 4-byte Folded Spill
	;; [unrolled: 1-line block ×4, first 2 shown]
	v_mul_f64 v[6:7], v[4:5], v[19:20]
	v_fma_f64 v[6:7], v[2:3], v[17:18], v[6:7]
	v_mul_f64 v[2:3], v[2:3], v[19:20]
	v_fma_f64 v[8:9], v[4:5], v[17:18], -v[2:3]
	global_load_dwordx4 v[17:20], v[14:15], off offset:128
	global_load_dwordx4 v[2:5], v[10:11], off
	v_add_co_u32 v10, vcc_lo, v10, s3
	v_add_co_ci_u32_e32 v11, vcc_lo, s2, v11, vcc_lo
	ds_write_b128 v120, v[6:9] offset:43200
	s_waitcnt vmcnt(1)
	buffer_store_dword v17, off, s[28:31], 0 offset:312 ; 4-byte Folded Spill
	buffer_store_dword v18, off, s[28:31], 0 offset:316 ; 4-byte Folded Spill
	;; [unrolled: 1-line block ×4, first 2 shown]
	s_waitcnt vmcnt(0)
	v_mul_f64 v[6:7], v[4:5], v[19:20]
	v_fma_f64 v[6:7], v[2:3], v[17:18], v[6:7]
	v_mul_f64 v[2:3], v[2:3], v[19:20]
	v_fma_f64 v[8:9], v[4:5], v[17:18], -v[2:3]
	global_load_dwordx4 v[2:5], v[10:11], off
	ds_write_b128 v120, v[6:9] offset:10368
	v_add_co_u32 v6, vcc_lo, 0x6800, v121
	v_add_co_ci_u32_e32 v7, vcc_lo, 0, v162, vcc_lo
	v_add_co_u32 v10, vcc_lo, v10, s3
	v_add_co_ci_u32_e32 v11, vcc_lo, s2, v11, vcc_lo
	global_load_dwordx4 v[17:20], v[6:7], off offset:1024
	s_waitcnt vmcnt(0)
	buffer_store_dword v17, off, s[28:31], 0 offset:360 ; 4-byte Folded Spill
	buffer_store_dword v18, off, s[28:31], 0 offset:364 ; 4-byte Folded Spill
	;; [unrolled: 1-line block ×4, first 2 shown]
	v_mul_f64 v[6:7], v[4:5], v[19:20]
	v_fma_f64 v[6:7], v[2:3], v[17:18], v[6:7]
	v_mul_f64 v[2:3], v[2:3], v[19:20]
	v_fma_f64 v[8:9], v[4:5], v[17:18], -v[2:3]
	ds_write_b128 v120, v[6:9] offset:27648
	global_load_dwordx4 v[2:5], v[10:11], off
	global_load_dwordx4 v[17:20], v[12:13], off offset:1920
	v_add_co_u32 v10, vcc_lo, v10, s4
	v_add_co_ci_u32_e32 v11, vcc_lo, s5, v11, vcc_lo
	s_waitcnt vmcnt(0)
	buffer_store_dword v17, off, s[28:31], 0 offset:328 ; 4-byte Folded Spill
	buffer_store_dword v18, off, s[28:31], 0 offset:332 ; 4-byte Folded Spill
	;; [unrolled: 1-line block ×4, first 2 shown]
	v_mul_f64 v[6:7], v[4:5], v[19:20]
	v_fma_f64 v[6:7], v[2:3], v[17:18], v[6:7]
	v_mul_f64 v[2:3], v[2:3], v[19:20]
	v_fma_f64 v[8:9], v[4:5], v[17:18], -v[2:3]
	ds_write_b128 v120, v[6:9] offset:44928
	global_load_dwordx4 v[2:5], v[10:11], off
	global_load_dwordx4 v[12:15], v[14:15], off offset:1856
	v_add_co_u32 v10, vcc_lo, v10, s3
	v_add_co_ci_u32_e32 v11, vcc_lo, s2, v11, vcc_lo
	s_waitcnt vmcnt(0)
	buffer_store_dword v12, off, s[28:31], 0 offset:344 ; 4-byte Folded Spill
	buffer_store_dword v13, off, s[28:31], 0 offset:348 ; 4-byte Folded Spill
	buffer_store_dword v14, off, s[28:31], 0 offset:352 ; 4-byte Folded Spill
	buffer_store_dword v15, off, s[28:31], 0 offset:356 ; 4-byte Folded Spill
	v_mul_f64 v[6:7], v[4:5], v[14:15]
	v_fma_f64 v[6:7], v[2:3], v[12:13], v[6:7]
	v_mul_f64 v[2:3], v[2:3], v[14:15]
	v_fma_f64 v[8:9], v[4:5], v[12:13], -v[2:3]
	global_load_dwordx4 v[2:5], v[10:11], off
	ds_write_b128 v120, v[6:9] offset:12096
	v_add_co_u32 v6, vcc_lo, 0x7000, v121
	v_add_co_ci_u32_e32 v7, vcc_lo, 0, v162, vcc_lo
	v_add_co_u32 v10, vcc_lo, v10, s3
	v_add_co_ci_u32_e32 v11, vcc_lo, s2, v11, vcc_lo
	global_load_dwordx4 v[12:15], v[6:7], off offset:704
	s_waitcnt vmcnt(0)
	buffer_store_dword v12, off, s[28:31], 0 offset:376 ; 4-byte Folded Spill
	buffer_store_dword v13, off, s[28:31], 0 offset:380 ; 4-byte Folded Spill
	buffer_store_dword v14, off, s[28:31], 0 offset:384 ; 4-byte Folded Spill
	buffer_store_dword v15, off, s[28:31], 0 offset:388 ; 4-byte Folded Spill
	v_mul_f64 v[6:7], v[4:5], v[14:15]
	v_fma_f64 v[6:7], v[2:3], v[12:13], v[6:7]
	v_mul_f64 v[2:3], v[2:3], v[14:15]
	v_fma_f64 v[8:9], v[4:5], v[12:13], -v[2:3]
	global_load_dwordx4 v[2:5], v[10:11], off
	ds_write_b128 v120, v[6:9] offset:29376
	v_add_co_u32 v6, vcc_lo, 0xb000, v121
	v_add_co_ci_u32_e32 v7, vcc_lo, 0, v162, vcc_lo
	v_add_co_u32 v10, vcc_lo, v10, s4
	v_add_co_ci_u32_e32 v11, vcc_lo, s5, v11, vcc_lo
	global_load_dwordx4 v[12:15], v[6:7], off offset:1600
	;; [unrolled: 16-line block ×5, first 2 shown]
	s_mov_b32 s5, 0xbfebb67a
	s_waitcnt vmcnt(0)
	buffer_store_dword v12, off, s[28:31], 0 offset:440 ; 4-byte Folded Spill
	buffer_store_dword v13, off, s[28:31], 0 offset:444 ; 4-byte Folded Spill
	;; [unrolled: 1-line block ×4, first 2 shown]
	v_mul_f64 v[6:7], v[4:5], v[14:15]
	v_fma_f64 v[6:7], v[2:3], v[12:13], v[6:7]
	v_mul_f64 v[2:3], v[2:3], v[14:15]
	v_fma_f64 v[8:9], v[4:5], v[12:13], -v[2:3]
	global_load_dwordx4 v[2:5], v[10:11], off
	ds_write_b128 v120, v[6:9] offset:48384
	v_add_co_u32 v6, vcc_lo, 0x3800, v121
	v_add_co_ci_u32_e32 v7, vcc_lo, 0, v162, vcc_lo
	global_load_dwordx4 v[12:15], v[6:7], off offset:1216
	s_waitcnt vmcnt(0)
	buffer_store_dword v12, off, s[28:31], 0 offset:472 ; 4-byte Folded Spill
	buffer_store_dword v13, off, s[28:31], 0 offset:476 ; 4-byte Folded Spill
	;; [unrolled: 1-line block ×4, first 2 shown]
	v_mul_f64 v[6:7], v[4:5], v[14:15]
	v_fma_f64 v[6:7], v[2:3], v[12:13], v[6:7]
	v_mul_f64 v[2:3], v[2:3], v[14:15]
	v_fma_f64 v[8:9], v[4:5], v[12:13], -v[2:3]
	ds_write_b128 v120, v[6:9] offset:15552
	v_add_co_u32 v6, vcc_lo, v10, s3
	v_add_co_ci_u32_e32 v7, vcc_lo, s2, v11, vcc_lo
	global_load_dwordx4 v[2:5], v[6:7], off
	global_load_dwordx4 v[8:11], v[0:1], off offset:64
	s_waitcnt vmcnt(0)
	buffer_store_dword v8, off, s[28:31], 0 offset:456 ; 4-byte Folded Spill
	buffer_store_dword v9, off, s[28:31], 0 offset:460 ; 4-byte Folded Spill
	;; [unrolled: 1-line block ×4, first 2 shown]
	v_mul_f64 v[0:1], v[4:5], v[10:11]
	v_fma_f64 v[0:1], v[2:3], v[8:9], v[0:1]
	v_mul_f64 v[2:3], v[2:3], v[10:11]
	v_fma_f64 v[2:3], v[4:5], v[8:9], -v[2:3]
	ds_write_b128 v120, v[0:3] offset:32832
	v_add_co_u32 v0, vcc_lo, v6, s3
	v_add_co_ci_u32_e32 v1, vcc_lo, s2, v7, vcc_lo
	v_add_co_u32 v4, vcc_lo, 0xc000, v121
	v_add_co_ci_u32_e32 v5, vcc_lo, 0, v162, vcc_lo
	global_load_dwordx4 v[0:3], v[0:1], off
	s_mov_b32 s2, 0xe8584caa
	s_mov_b32 s3, 0x3febb67a
	global_load_dwordx4 v[4:7], v[4:5], off offset:960
	s_mov_b32 s4, s2
	v_cmp_gt_u16_e32 vcc_lo, 0x5a, v188
	s_waitcnt vmcnt(0)
	v_mov_b32_e32 v9, v7
	v_mov_b32_e32 v8, v6
	;; [unrolled: 1-line block ×4, first 2 shown]
	v_mul_f64 v[4:5], v[2:3], v[8:9]
	v_fma_f64 v[4:5], v[0:1], v[6:7], v[4:5]
	v_mul_f64 v[0:1], v[0:1], v[8:9]
	buffer_store_dword v6, off, s[28:31], 0 offset:56 ; 4-byte Folded Spill
	buffer_store_dword v7, off, s[28:31], 0 offset:60 ; 4-byte Folded Spill
	;; [unrolled: 1-line block ×4, first 2 shown]
	v_fma_f64 v[6:7], v[2:3], v[6:7], -v[0:1]
	ds_write_b128 v120, v[4:7] offset:50112
	s_waitcnt lgkmcnt(0)
	s_waitcnt_vscnt null, 0x0
	s_barrier
	buffer_gl0_inv
	ds_read_b128 v[16:19], v120
	ds_read_b128 v[36:39], v120 offset:17280
	ds_read_b128 v[40:43], v120 offset:34560
	;; [unrolled: 1-line block ×29, first 2 shown]
	s_waitcnt lgkmcnt(27)
	v_add_f64 v[14:15], v[36:37], v[40:41]
	v_add_f64 v[20:21], v[38:39], -v[42:43]
	v_add_f64 v[12:13], v[16:17], v[36:37]
	v_add_f64 v[22:23], v[38:39], v[42:43]
	v_add_f64 v[36:37], v[36:37], -v[40:41]
	s_waitcnt lgkmcnt(18)
	v_add_f64 v[74:75], v[96:97], v[130:131]
	s_waitcnt lgkmcnt(0)
	v_add_f64 v[110:111], v[112:113], v[122:123]
	s_barrier
	buffer_gl0_inv
	v_fma_f64 v[14:15], v[14:15], -0.5, v[16:17]
	v_add_f64 v[12:13], v[12:13], v[40:41]
	v_fma_f64 v[22:23], v[22:23], -0.5, v[18:19]
	v_add_f64 v[40:41], v[62:63], -v[139:140]
	v_fma_f64 v[74:75], v[74:75], -0.5, v[76:77]
	v_fma_f64 v[110:111], v[110:111], -0.5, v[116:117]
	v_fma_f64 v[16:17], v[20:21], s[2:3], v[14:15]
	v_fma_f64 v[20:21], v[20:21], s[4:5], v[14:15]
	v_add_f64 v[14:15], v[18:19], v[38:39]
	v_add_f64 v[38:39], v[60:61], v[137:138]
	v_fma_f64 v[18:19], v[36:37], s[4:5], v[22:23]
	v_fma_f64 v[22:23], v[36:37], s[2:3], v[22:23]
	v_add_f64 v[36:37], v[44:45], v[60:61]
	v_add_f64 v[60:61], v[60:61], -v[137:138]
	v_add_f64 v[14:15], v[14:15], v[42:43]
	v_fma_f64 v[38:39], v[38:39], -0.5, v[44:45]
	v_add_f64 v[42:43], v[62:63], v[139:140]
	v_add_f64 v[36:37], v[36:37], v[137:138]
	v_fma_f64 v[44:45], v[40:41], s[2:3], v[38:39]
	v_fma_f64 v[40:41], v[40:41], s[4:5], v[38:39]
	v_add_f64 v[38:39], v[46:47], v[62:63]
	v_fma_f64 v[42:43], v[42:43], -0.5, v[46:47]
	v_add_f64 v[62:63], v[70:71], v[80:81]
	v_add_f64 v[38:39], v[38:39], v[139:140]
	v_fma_f64 v[46:47], v[60:61], s[4:5], v[42:43]
	v_fma_f64 v[42:43], v[60:61], s[2:3], v[42:43]
	v_add_f64 v[60:61], v[64:65], v[70:71]
	v_fma_f64 v[62:63], v[62:63], -0.5, v[64:65]
	v_add_f64 v[64:65], v[72:73], -v[82:83]
	v_add_f64 v[60:61], v[60:61], v[80:81]
	v_fma_f64 v[68:69], v[64:65], s[2:3], v[62:63]
	v_fma_f64 v[64:65], v[64:65], s[4:5], v[62:63]
	v_add_f64 v[62:63], v[66:67], v[72:73]
	v_add_f64 v[72:73], v[72:73], v[82:83]
	;; [unrolled: 1-line block ×3, first 2 shown]
	v_fma_f64 v[66:67], v[72:73], -0.5, v[66:67]
	v_add_f64 v[72:73], v[70:71], -v[80:81]
	v_add_f64 v[82:83], v[98:99], v[132:133]
	v_fma_f64 v[70:71], v[72:73], s[4:5], v[66:67]
	v_fma_f64 v[66:67], v[72:73], s[2:3], v[66:67]
	v_add_f64 v[72:73], v[76:77], v[96:97]
	v_add_f64 v[76:77], v[98:99], -v[132:133]
	v_add_f64 v[96:97], v[96:97], -v[130:131]
	v_add_f64 v[72:73], v[72:73], v[130:131]
	v_fma_f64 v[80:81], v[76:77], s[2:3], v[74:75]
	v_fma_f64 v[76:77], v[76:77], s[4:5], v[74:75]
	v_add_f64 v[74:75], v[78:79], v[98:99]
	v_fma_f64 v[78:79], v[82:83], -0.5, v[78:79]
	v_add_f64 v[98:99], v[106:107], v[126:127]
	v_add_f64 v[74:75], v[74:75], v[132:133]
	v_fma_f64 v[82:83], v[96:97], s[4:5], v[78:79]
	v_fma_f64 v[78:79], v[96:97], s[2:3], v[78:79]
	v_add_f64 v[96:97], v[100:101], v[106:107]
	v_fma_f64 v[98:99], v[98:99], -0.5, v[100:101]
	v_add_f64 v[100:101], v[108:109], -v[128:129]
	v_add_f64 v[96:97], v[96:97], v[126:127]
	v_fma_f64 v[104:105], v[100:101], s[2:3], v[98:99]
	v_fma_f64 v[100:101], v[100:101], s[4:5], v[98:99]
	v_add_f64 v[98:99], v[102:103], v[108:109]
	v_add_f64 v[108:109], v[108:109], v[128:129]
	;; [unrolled: 1-line block ×3, first 2 shown]
	v_fma_f64 v[102:103], v[108:109], -0.5, v[102:103]
	v_add_f64 v[108:109], v[106:107], -v[126:127]
	v_fma_f64 v[106:107], v[108:109], s[4:5], v[102:103]
	v_fma_f64 v[102:103], v[108:109], s[2:3], v[102:103]
	v_add_f64 v[108:109], v[116:117], v[112:113]
	v_add_f64 v[116:117], v[114:115], -v[124:125]
	v_add_f64 v[112:113], v[112:113], -v[122:123]
	v_add_f64 v[108:109], v[108:109], v[122:123]
	v_fma_f64 v[128:129], v[116:117], s[2:3], v[110:111]
	v_fma_f64 v[116:117], v[116:117], s[4:5], v[110:111]
	v_add_f64 v[110:111], v[118:119], v[114:115]
	v_add_f64 v[114:115], v[114:115], v[124:125]
	v_add_f64 v[110:111], v[110:111], v[124:125]
	v_fma_f64 v[114:115], v[114:115], -0.5, v[118:119]
	v_fma_f64 v[130:131], v[112:113], s[4:5], v[114:115]
	v_fma_f64 v[118:119], v[112:113], s[2:3], v[114:115]
	v_add_f64 v[114:115], v[84:85], v[88:89]
	v_add_f64 v[112:113], v[92:93], v[84:85]
	v_add_f64 v[84:85], v[84:85], -v[88:89]
	v_fma_f64 v[92:93], v[114:115], -0.5, v[92:93]
	v_add_f64 v[114:115], v[86:87], -v[90:91]
	v_add_f64 v[112:113], v[112:113], v[88:89]
	v_fma_f64 v[124:125], v[114:115], s[2:3], v[92:93]
	v_fma_f64 v[92:93], v[114:115], s[4:5], v[92:93]
	v_add_f64 v[114:115], v[94:95], v[86:87]
	v_add_f64 v[86:87], v[86:87], v[90:91]
	v_add_f64 v[114:115], v[114:115], v[90:91]
	v_fma_f64 v[86:87], v[86:87], -0.5, v[94:95]
	v_fma_f64 v[126:127], v[84:85], s[4:5], v[86:87]
	v_fma_f64 v[94:95], v[84:85], s[2:3], v[86:87]
	v_add_f64 v[86:87], v[48:49], v[52:53]
	v_add_f64 v[84:85], v[56:57], v[48:49]
	v_add_f64 v[48:49], v[48:49], -v[52:53]
	v_fma_f64 v[56:57], v[86:87], -0.5, v[56:57]
	;; [unrolled: 14-line block ×4, first 2 shown]
	v_add_f64 v[26:27], v[2:3], -v[6:7]
	v_add_f64 v[24:25], v[24:25], v[4:5]
	v_fma_f64 v[28:29], v[26:27], s[2:3], v[8:9]
	v_fma_f64 v[8:9], v[26:27], s[4:5], v[8:9]
	v_add_f64 v[26:27], v[10:11], v[2:3]
	v_add_f64 v[2:3], v[2:3], v[6:7]
	;; [unrolled: 1-line block ×3, first 2 shown]
	v_fma_f64 v[2:3], v[2:3], -0.5, v[10:11]
	v_fma_f64 v[30:31], v[0:1], s[4:5], v[2:3]
	v_fma_f64 v[10:11], v[0:1], s[2:3], v[2:3]
	v_mul_lo_u16 v0, v188, 3
	v_lshlrev_b32_sdwa v0, v189, v0 dst_sel:DWORD dst_unused:UNUSED_PAD src0_sel:DWORD src1_sel:WORD_0
	buffer_store_dword v0, off, s[28:31], 0 offset:528 ; 4-byte Folded Spill
	ds_write_b128 v0, v[12:15]
	ds_write_b128 v0, v[16:19] offset:16
	ds_write_b128 v0, v[20:23] offset:32
	v_mul_u32_u24_e32 v0, 3, v164
	v_lshlrev_b32_e32 v0, 4, v0
	buffer_store_dword v0, off, s[28:31], 0 offset:512 ; 4-byte Folded Spill
	ds_write_b128 v0, v[36:39]
	ds_write_b128 v0, v[44:47] offset:16
	ds_write_b128 v0, v[40:43] offset:32
	v_mul_u32_u24_e32 v0, 3, v165
	v_lshlrev_b32_e32 v0, 4, v0
	;; [unrolled: 6-line block ×6, first 2 shown]
	buffer_store_dword v0, off, s[28:31], 0 offset:508 ; 4-byte Folded Spill
	ds_write_b128 v0, v[112:115]
	ds_write_b128 v0, v[124:127] offset:16
	ds_write_b128 v0, v[92:95] offset:32
	v_mul_u32_u24_e32 v0, 3, v136
	v_mul_lo_u16 v112, 0xab, v170
	v_lshlrev_b32_e32 v0, 4, v0
	v_lshrrev_b16 v171, 9, v112
	buffer_store_dword v0, off, s[28:31], 0 offset:500 ; 4-byte Folded Spill
	ds_write_b128 v0, v[84:87]
	ds_write_b128 v0, v[88:91] offset:16
	ds_write_b128 v0, v[56:59] offset:32
	v_mul_u32_u24_e32 v0, 3, v163
	v_mul_lo_u16 v112, v171, 3
	v_lshlrev_b32_e32 v0, 4, v0
	v_sub_nc_u16 v112, v188, v112
	buffer_store_dword v0, off, s[28:31], 0 offset:496 ; 4-byte Folded Spill
	ds_write_b128 v0, v[48:51]
	ds_write_b128 v0, v[52:55] offset:16
	ds_write_b128 v0, v[32:35] offset:32
	v_mul_u32_u24_e32 v0, 3, v169
	v_and_b32_e32 v172, 0xff, v112
	v_lshlrev_b32_e32 v0, 4, v0
	v_lshlrev_b32_e32 v112, 5, v172
	buffer_store_dword v0, off, s[28:31], 0 offset:492 ; 4-byte Folded Spill
	ds_write_b128 v0, v[24:27]
	ds_write_b128 v0, v[28:31] offset:16
	ds_write_b128 v0, v[8:11] offset:32
	s_waitcnt lgkmcnt(0)
	s_waitcnt_vscnt null, 0x0
	s_barrier
	buffer_gl0_inv
	ds_read_b128 v[36:39], v120
	ds_read_b128 v[114:117], v120 offset:17280
	ds_read_b128 v[122:125], v120 offset:34560
	;; [unrolled: 1-line block ×29, first 2 shown]
	s_clause 0x1
	global_load_dwordx4 v[126:129], v112, s[10:11] offset:16
	global_load_dwordx4 v[130:133], v112, s[10:11]
	s_waitcnt vmcnt(0)
	buffer_store_dword v130, off, s[28:31], 0 offset:548 ; 4-byte Folded Spill
	buffer_store_dword v131, off, s[28:31], 0 offset:552 ; 4-byte Folded Spill
	;; [unrolled: 1-line block ×8, first 2 shown]
	s_waitcnt lgkmcnt(28)
	v_mul_f64 v[112:113], v[116:117], v[132:133]
	v_fma_f64 v[112:113], v[114:115], v[130:131], -v[112:113]
	v_mul_f64 v[114:115], v[114:115], v[132:133]
	v_fma_f64 v[118:119], v[116:117], v[130:131], v[114:115]
	s_waitcnt lgkmcnt(27)
	v_mul_f64 v[114:115], v[124:125], v[128:129]
	v_fma_f64 v[116:117], v[122:123], v[126:127], -v[114:115]
	v_mul_f64 v[114:115], v[122:123], v[128:129]
	v_fma_f64 v[160:161], v[124:125], v[126:127], v[114:115]
	v_mul_lo_u16 v114, 0xab, v168
	v_lshrrev_b16 v173, 9, v114
	v_mul_lo_u16 v114, v173, 3
	v_sub_nc_u16 v114, v164, v114
	v_and_b32_e32 v174, 0xff, v114
	v_lshlrev_b32_e32 v114, 5, v174
	s_clause 0x1
	global_load_dwordx4 v[122:125], v114, s[10:11] offset:16
	global_load_dwordx4 v[126:129], v114, s[10:11]
	s_waitcnt vmcnt(0)
	buffer_store_dword v126, off, s[28:31], 0 offset:580 ; 4-byte Folded Spill
	buffer_store_dword v127, off, s[28:31], 0 offset:584 ; 4-byte Folded Spill
	buffer_store_dword v128, off, s[28:31], 0 offset:588 ; 4-byte Folded Spill
	buffer_store_dword v129, off, s[28:31], 0 offset:592 ; 4-byte Folded Spill
	buffer_store_dword v122, off, s[28:31], 0 offset:564 ; 4-byte Folded Spill
	buffer_store_dword v123, off, s[28:31], 0 offset:568 ; 4-byte Folded Spill
	buffer_store_dword v124, off, s[28:31], 0 offset:572 ; 4-byte Folded Spill
	buffer_store_dword v125, off, s[28:31], 0 offset:576 ; 4-byte Folded Spill
	s_waitcnt lgkmcnt(25)
	v_mul_f64 v[114:115], v[110:111], v[128:129]
	v_fma_f64 v[114:115], v[108:109], v[126:127], -v[114:115]
	v_mul_f64 v[108:109], v[108:109], v[128:129]
	v_fma_f64 v[110:111], v[110:111], v[126:127], v[108:109]
	s_waitcnt lgkmcnt(24)
	v_mul_f64 v[108:109], v[106:107], v[124:125]
	v_fma_f64 v[108:109], v[104:105], v[122:123], -v[108:109]
	v_mul_f64 v[104:105], v[104:105], v[124:125]
	v_fma_f64 v[104:105], v[106:107], v[122:123], v[104:105]
	v_mul_u32_u24_sdwa v106, v165, v190 dst_sel:DWORD dst_unused:UNUSED_PAD src0_sel:WORD_0 src1_sel:DWORD
	v_lshrrev_b32_e32 v175, 17, v106
	v_mul_lo_u16 v106, v175, 3
	v_sub_nc_u16 v176, v165, v106
	v_lshlrev_b16 v106, 1, v176
	v_lshlrev_b32_sdwa v106, v189, v106 dst_sel:DWORD dst_unused:UNUSED_PAD src0_sel:DWORD src1_sel:WORD_0
	s_clause 0x1
	global_load_dwordx4 v[122:125], v106, s[10:11] offset:16
	global_load_dwordx4 v[126:129], v106, s[10:11]
	s_waitcnt vmcnt(0)
	buffer_store_dword v126, off, s[28:31], 0 offset:612 ; 4-byte Folded Spill
	buffer_store_dword v127, off, s[28:31], 0 offset:616 ; 4-byte Folded Spill
	buffer_store_dword v128, off, s[28:31], 0 offset:620 ; 4-byte Folded Spill
	buffer_store_dword v129, off, s[28:31], 0 offset:624 ; 4-byte Folded Spill
	buffer_store_dword v122, off, s[28:31], 0 offset:596 ; 4-byte Folded Spill
	buffer_store_dword v123, off, s[28:31], 0 offset:600 ; 4-byte Folded Spill
	buffer_store_dword v124, off, s[28:31], 0 offset:604 ; 4-byte Folded Spill
	buffer_store_dword v125, off, s[28:31], 0 offset:608 ; 4-byte Folded Spill
	s_waitcnt lgkmcnt(22)
	v_mul_f64 v[106:107], v[102:103], v[128:129]
	v_fma_f64 v[106:107], v[100:101], v[126:127], -v[106:107]
	v_mul_f64 v[100:101], v[100:101], v[128:129]
	v_fma_f64 v[102:103], v[102:103], v[126:127], v[100:101]
	s_waitcnt lgkmcnt(21)
	v_mul_f64 v[100:101], v[98:99], v[124:125]
	v_fma_f64 v[100:101], v[96:97], v[122:123], -v[100:101]
	v_mul_f64 v[96:97], v[96:97], v[124:125]
	v_fma_f64 v[124:125], v[98:99], v[122:123], v[96:97]
	v_mul_u32_u24_sdwa v96, v166, v190 dst_sel:DWORD dst_unused:UNUSED_PAD src0_sel:WORD_0 src1_sel:DWORD
	v_lshrrev_b32_e32 v177, 17, v96
	v_mul_lo_u16 v96, v177, 3
	v_sub_nc_u16 v178, v166, v96
	v_lshlrev_b16 v96, 1, v178
	v_lshlrev_b32_sdwa v96, v189, v96 dst_sel:DWORD dst_unused:UNUSED_PAD src0_sel:DWORD src1_sel:WORD_0
	;; [unrolled: 28-line block ×3, first 2 shown]
	s_clause 0x1
	global_load_dwordx4 v[130:133], v88, s[10:11] offset:16
	global_load_dwordx4 v[137:140], v88, s[10:11]
	s_waitcnt vmcnt(0) lgkmcnt(16)
	v_mul_f64 v[88:89], v[86:87], v[139:140]
	v_fma_f64 v[150:151], v[84:85], v[137:138], -v[88:89]
	buffer_store_dword v137, off, s[28:31], 0 offset:824 ; 4-byte Folded Spill
	buffer_store_dword v138, off, s[28:31], 0 offset:828 ; 4-byte Folded Spill
	;; [unrolled: 1-line block ×8, first 2 shown]
	v_mul_f64 v[84:85], v[84:85], v[139:140]
	v_fma_f64 v[156:157], v[86:87], v[137:138], v[84:85]
	s_waitcnt lgkmcnt(15)
	v_mul_f64 v[84:85], v[82:83], v[132:133]
	v_fma_f64 v[154:155], v[80:81], v[130:131], -v[84:85]
	v_mul_f64 v[80:81], v[80:81], v[132:133]
	v_fma_f64 v[158:159], v[82:83], v[130:131], v[80:81]
	v_mul_u32_u24_sdwa v80, v134, v190 dst_sel:DWORD dst_unused:UNUSED_PAD src0_sel:WORD_0 src1_sel:DWORD
	v_lshrrev_b32_e32 v181, 17, v80
	v_mul_lo_u16 v80, v181, 3
	v_sub_nc_u16 v182, v134, v80
	v_lshlrev_b16 v80, 1, v182
	v_lshlrev_b32_sdwa v80, v189, v80 dst_sel:DWORD dst_unused:UNUSED_PAD src0_sel:DWORD src1_sel:WORD_0
	s_clause 0x1
	global_load_dwordx4 v[82:85], v80, s[10:11] offset:16
	global_load_dwordx4 v[86:89], v80, s[10:11]
	s_waitcnt vmcnt(0) lgkmcnt(13)
	v_mul_f64 v[80:81], v[78:79], v[88:89]
	v_fma_f64 v[142:143], v[76:77], v[86:87], -v[80:81]
	buffer_store_dword v86, off, s[28:31], 0 offset:860 ; 4-byte Folded Spill
	buffer_store_dword v87, off, s[28:31], 0 offset:864 ; 4-byte Folded Spill
	;; [unrolled: 1-line block ×8, first 2 shown]
	v_mul_f64 v[76:77], v[76:77], v[88:89]
	v_fma_f64 v[148:149], v[78:79], v[86:87], v[76:77]
	s_waitcnt lgkmcnt(12)
	v_mul_f64 v[76:77], v[74:75], v[84:85]
	v_fma_f64 v[146:147], v[72:73], v[82:83], -v[76:77]
	v_mul_f64 v[72:73], v[72:73], v[84:85]
	v_fma_f64 v[152:153], v[74:75], v[82:83], v[72:73]
	v_mul_u32_u24_sdwa v72, v135, v190 dst_sel:DWORD dst_unused:UNUSED_PAD src0_sel:WORD_0 src1_sel:DWORD
	v_lshrrev_b32_e32 v183, 17, v72
	v_mul_lo_u16 v72, v183, 3
	v_sub_nc_u16 v184, v135, v72
	v_lshlrev_b16 v72, 1, v184
	v_lshlrev_b32_sdwa v72, v189, v72 dst_sel:DWORD dst_unused:UNUSED_PAD src0_sel:DWORD src1_sel:WORD_0
	s_clause 0x1
	global_load_dwordx4 v[74:77], v72, s[10:11] offset:16
	global_load_dwordx4 v[78:81], v72, s[10:11]
	s_waitcnt vmcnt(0)
	buffer_store_dword v78, off, s[28:31], 0 offset:908 ; 4-byte Folded Spill
	buffer_store_dword v79, off, s[28:31], 0 offset:912 ; 4-byte Folded Spill
	;; [unrolled: 1-line block ×8, first 2 shown]
	s_waitcnt lgkmcnt(10)
	v_mul_f64 v[72:73], v[70:71], v[80:81]
	v_fma_f64 v[134:135], v[68:69], v[78:79], -v[72:73]
	v_mul_f64 v[68:69], v[68:69], v[80:81]
	v_fma_f64 v[140:141], v[70:71], v[78:79], v[68:69]
	s_waitcnt lgkmcnt(9)
	v_mul_f64 v[68:69], v[66:67], v[76:77]
	v_add_f64 v[78:79], v[156:157], v[158:159]
	v_fma_f64 v[138:139], v[64:65], v[74:75], -v[68:69]
	v_mul_f64 v[64:65], v[64:65], v[76:77]
	v_fma_f64 v[144:145], v[66:67], v[74:75], v[64:65]
	v_mul_u32_u24_sdwa v64, v136, v190 dst_sel:DWORD dst_unused:UNUSED_PAD src0_sel:WORD_0 src1_sel:DWORD
	v_add_f64 v[74:75], v[150:151], v[154:155]
	v_lshrrev_b32_e32 v185, 17, v64
	v_mul_lo_u16 v64, v185, 3
	v_sub_nc_u16 v186, v136, v64
	v_lshlrev_b16 v64, 1, v186
	v_lshlrev_b32_sdwa v64, v189, v64 dst_sel:DWORD dst_unused:UNUSED_PAD src0_sel:DWORD src1_sel:WORD_0
	s_clause 0x1
	global_load_dwordx4 v[66:69], v64, s[10:11] offset:16
	global_load_dwordx4 v[70:73], v64, s[10:11]
	s_waitcnt vmcnt(0) lgkmcnt(7)
	v_mul_f64 v[64:65], v[62:63], v[72:73]
	v_fma_f64 v[98:99], v[60:61], v[70:71], -v[64:65]
	buffer_store_dword v70, off, s[28:31], 0 offset:992 ; 4-byte Folded Spill
	buffer_store_dword v71, off, s[28:31], 0 offset:996 ; 4-byte Folded Spill
	buffer_store_dword v72, off, s[28:31], 0 offset:1000 ; 4-byte Folded Spill
	buffer_store_dword v73, off, s[28:31], 0 offset:1004 ; 4-byte Folded Spill
	buffer_store_dword v66, off, s[28:31], 0 offset:1008 ; 4-byte Folded Spill
	buffer_store_dword v67, off, s[28:31], 0 offset:1012 ; 4-byte Folded Spill
	buffer_store_dword v68, off, s[28:31], 0 offset:1016 ; 4-byte Folded Spill
	buffer_store_dword v69, off, s[28:31], 0 offset:1020 ; 4-byte Folded Spill
	v_mul_f64 v[60:61], v[60:61], v[72:73]
	v_add_f64 v[72:73], v[96:97], -v[92:93]
	v_fma_f64 v[132:133], v[62:63], v[70:71], v[60:61]
	s_waitcnt lgkmcnt(6)
	v_mul_f64 v[60:61], v[58:59], v[68:69]
	v_add_f64 v[70:71], v[126:127], v[128:129]
	v_fma_f64 v[130:131], v[56:57], v[66:67], -v[60:61]
	v_mul_f64 v[56:57], v[56:57], v[68:69]
	v_fma_f64 v[136:137], v[58:59], v[66:67], v[56:57]
	v_mul_u32_u24_sdwa v56, v163, v190 dst_sel:DWORD dst_unused:UNUSED_PAD src0_sel:WORD_0 src1_sel:DWORD
	v_add_f64 v[66:67], v[96:97], v[92:93]
	v_lshrrev_b32_e32 v187, 17, v56
	v_mul_lo_u16 v56, v187, 3
	v_sub_nc_u16 v163, v163, v56
	v_lshlrev_b16 v56, 1, v163
	v_lshlrev_b32_sdwa v56, v189, v56 dst_sel:DWORD dst_unused:UNUSED_PAD src0_sel:DWORD src1_sel:WORD_0
	s_clause 0x1
	global_load_dwordx4 v[58:61], v56, s[10:11] offset:16
	global_load_dwordx4 v[62:65], v56, s[10:11]
	s_waitcnt vmcnt(0)
	buffer_store_dword v62, off, s[28:31], 0 offset:1028 ; 4-byte Folded Spill
	buffer_store_dword v63, off, s[28:31], 0 offset:1032 ; 4-byte Folded Spill
	;; [unrolled: 1-line block ×8, first 2 shown]
	s_waitcnt lgkmcnt(4)
	v_mul_f64 v[56:57], v[54:55], v[64:65]
	v_fma_f64 v[86:87], v[52:53], v[62:63], -v[56:57]
	v_mul_f64 v[52:53], v[52:53], v[64:65]
	v_add_f64 v[56:57], v[114:115], -v[108:109]
	v_add_f64 v[64:65], v[106:107], -v[100:101]
	v_fma_f64 v[94:95], v[54:55], v[62:63], v[52:53]
	s_waitcnt lgkmcnt(3)
	v_mul_f64 v[52:53], v[50:51], v[60:61]
	v_add_f64 v[54:55], v[110:111], v[104:105]
	v_add_f64 v[62:63], v[102:103], v[124:125]
	v_fma_f64 v[90:91], v[48:49], v[58:59], -v[52:53]
	v_mul_f64 v[48:49], v[48:49], v[60:61]
	v_fma_f64 v[122:123], v[50:51], v[58:59], v[48:49]
	v_mul_u32_u24_sdwa v48, v169, v190 dst_sel:DWORD dst_unused:UNUSED_PAD src0_sel:WORD_0 src1_sel:DWORD
	v_add_f64 v[50:51], v[114:115], v[108:109]
	v_add_f64 v[58:59], v[106:107], v[100:101]
	v_lshrrev_b32_e32 v190, 17, v48
	v_mul_lo_u16 v48, v190, 3
	v_sub_nc_u16 v169, v169, v48
	v_lshlrev_b16 v48, 1, v169
	v_lshlrev_b32_sdwa v48, v189, v48 dst_sel:DWORD dst_unused:UNUSED_PAD src0_sel:DWORD src1_sel:WORD_0
	s_clause 0x1
	global_load_dwordx4 v[252:255], v48, s[10:11] offset:16
	global_load_dwordx4 v[248:251], v48, s[10:11]
	s_waitcnt vmcnt(0) lgkmcnt(0)
	s_waitcnt_vscnt null, 0x0
	s_barrier
	buffer_gl0_inv
	v_mul_f64 v[48:49], v[46:47], v[250:251]
	v_fma_f64 v[80:81], v[44:45], v[248:249], -v[48:49]
	v_mul_f64 v[44:45], v[44:45], v[250:251]
	v_add_f64 v[48:49], v[112:113], -v[116:117]
	v_fma_f64 v[84:85], v[46:47], v[248:249], v[44:45]
	v_mul_f64 v[44:45], v[42:43], v[254:255]
	v_add_f64 v[46:47], v[118:119], v[160:161]
	v_fma_f64 v[82:83], v[40:41], v[252:253], -v[44:45]
	v_mul_f64 v[40:41], v[40:41], v[254:255]
	v_fma_f64 v[88:89], v[42:43], v[252:253], v[40:41]
	v_add_f64 v[42:43], v[112:113], v[116:117]
	v_add_f64 v[40:41], v[36:37], v[112:113]
	v_fma_f64 v[36:37], v[42:43], -0.5, v[36:37]
	v_add_f64 v[42:43], v[118:119], -v[160:161]
	v_add_f64 v[40:41], v[40:41], v[116:117]
	v_fma_f64 v[44:45], v[42:43], s[2:3], v[36:37]
	v_fma_f64 v[36:37], v[42:43], s[4:5], v[36:37]
	v_add_f64 v[42:43], v[38:39], v[118:119]
	v_fma_f64 v[38:39], v[46:47], -0.5, v[38:39]
	v_add_f64 v[42:43], v[42:43], v[160:161]
	v_fma_f64 v[46:47], v[48:49], s[4:5], v[38:39]
	v_fma_f64 v[38:39], v[48:49], s[2:3], v[38:39]
	v_add_f64 v[48:49], v[32:33], v[114:115]
	v_fma_f64 v[32:33], v[50:51], -0.5, v[32:33]
	v_add_f64 v[50:51], v[110:111], -v[104:105]
	v_add_f64 v[48:49], v[48:49], v[108:109]
	v_fma_f64 v[52:53], v[50:51], s[2:3], v[32:33]
	v_fma_f64 v[32:33], v[50:51], s[4:5], v[32:33]
	v_add_f64 v[50:51], v[34:35], v[110:111]
	v_fma_f64 v[34:35], v[54:55], -0.5, v[34:35]
	v_add_f64 v[50:51], v[50:51], v[104:105]
	v_fma_f64 v[54:55], v[56:57], s[4:5], v[34:35]
	v_fma_f64 v[34:35], v[56:57], s[2:3], v[34:35]
	;; [unrolled: 11-line block ×3, first 2 shown]
	v_add_f64 v[64:65], v[24:25], v[96:97]
	v_fma_f64 v[24:25], v[66:67], -0.5, v[24:25]
	v_add_f64 v[66:67], v[126:127], -v[128:129]
	v_add_f64 v[96:97], v[148:149], -v[152:153]
	v_add_f64 v[64:65], v[64:65], v[92:93]
	v_add_f64 v[92:93], v[150:151], -v[154:155]
	v_fma_f64 v[68:69], v[66:67], s[2:3], v[24:25]
	v_fma_f64 v[24:25], v[66:67], s[4:5], v[24:25]
	v_add_f64 v[66:67], v[26:27], v[126:127]
	v_fma_f64 v[26:27], v[70:71], -0.5, v[26:27]
	v_add_f64 v[126:127], v[94:95], -v[122:123]
	v_add_f64 v[66:67], v[66:67], v[128:129]
	v_fma_f64 v[70:71], v[72:73], s[4:5], v[26:27]
	v_fma_f64 v[26:27], v[72:73], s[2:3], v[26:27]
	v_add_f64 v[72:73], v[20:21], v[150:151]
	v_fma_f64 v[20:21], v[74:75], -0.5, v[20:21]
	v_add_f64 v[74:75], v[156:157], -v[158:159]
	v_add_f64 v[72:73], v[72:73], v[154:155]
	v_fma_f64 v[76:77], v[74:75], s[2:3], v[20:21]
	v_fma_f64 v[20:21], v[74:75], s[4:5], v[20:21]
	v_add_f64 v[74:75], v[22:23], v[156:157]
	v_fma_f64 v[22:23], v[78:79], -0.5, v[22:23]
	v_add_f64 v[74:75], v[74:75], v[158:159]
	v_fma_f64 v[78:79], v[92:93], s[4:5], v[22:23]
	v_fma_f64 v[22:23], v[92:93], s[2:3], v[22:23]
	v_add_f64 v[92:93], v[16:17], v[142:143]
	v_add_f64 v[100:101], v[92:93], v[146:147]
	;; [unrolled: 1-line block ×3, first 2 shown]
	v_fma_f64 v[92:93], v[92:93], -0.5, v[16:17]
	v_fma_f64 v[16:17], v[96:97], s[2:3], v[92:93]
	v_fma_f64 v[104:105], v[96:97], s[4:5], v[92:93]
	v_add_f64 v[92:93], v[18:19], v[148:149]
	v_add_f64 v[96:97], v[142:143], -v[146:147]
	v_add_f64 v[102:103], v[92:93], v[152:153]
	v_add_f64 v[92:93], v[148:149], v[152:153]
	v_fma_f64 v[92:93], v[92:93], -0.5, v[18:19]
	v_fma_f64 v[18:19], v[96:97], s[4:5], v[92:93]
	v_fma_f64 v[106:107], v[96:97], s[2:3], v[92:93]
	v_add_f64 v[92:93], v[12:13], v[134:135]
	v_add_f64 v[96:97], v[140:141], -v[144:145]
	v_add_f64 v[108:109], v[92:93], v[138:139]
	v_add_f64 v[92:93], v[134:135], v[138:139]
	;; [unrolled: 7-line block ×4, first 2 shown]
	v_add_f64 v[98:99], v[98:99], -v[130:131]
	v_fma_f64 v[92:93], v[92:93], -0.5, v[8:9]
	v_fma_f64 v[8:9], v[96:97], s[2:3], v[92:93]
	v_fma_f64 v[96:97], v[96:97], s[4:5], v[92:93]
	v_add_f64 v[92:93], v[10:11], v[132:133]
	v_add_f64 v[118:119], v[92:93], v[136:137]
	;; [unrolled: 1-line block ×3, first 2 shown]
	v_fma_f64 v[92:93], v[92:93], -0.5, v[10:11]
	v_fma_f64 v[10:11], v[98:99], s[4:5], v[92:93]
	v_fma_f64 v[98:99], v[98:99], s[2:3], v[92:93]
	v_add_f64 v[92:93], v[4:5], v[86:87]
	v_add_f64 v[124:125], v[92:93], v[90:91]
	;; [unrolled: 1-line block ×3, first 2 shown]
	v_add_f64 v[86:87], v[86:87], -v[90:91]
	v_add_f64 v[90:91], v[84:85], -v[88:89]
	v_fma_f64 v[92:93], v[92:93], -0.5, v[4:5]
	v_fma_f64 v[4:5], v[126:127], s[2:3], v[92:93]
	v_fma_f64 v[92:93], v[126:127], s[4:5], v[92:93]
	v_add_f64 v[126:127], v[6:7], v[94:95]
	v_add_f64 v[94:95], v[94:95], v[122:123]
	;; [unrolled: 1-line block ×3, first 2 shown]
	v_fma_f64 v[94:95], v[94:95], -0.5, v[6:7]
	v_mul_lo_u16 v122, v170, 57
	v_lshrrev_b16 v160, 9, v122
	v_mul_lo_u16 v122, v160, 9
	v_sub_nc_u16 v122, v188, v122
	v_and_b32_e32 v161, 0xff, v122
	v_fma_f64 v[6:7], v[86:87], s[4:5], v[94:95]
	v_fma_f64 v[94:95], v[86:87], s[2:3], v[94:95]
	v_add_f64 v[86:87], v[0:1], v[80:81]
	v_mad_u64_u32 v[138:139], null, 0x90, v161, s[10:11]
	v_add_f64 v[128:129], v[86:87], v[82:83]
	v_add_f64 v[86:87], v[80:81], v[82:83]
	v_add_f64 v[80:81], v[80:81], -v[82:83]
	v_fma_f64 v[86:87], v[86:87], -0.5, v[0:1]
	v_fma_f64 v[0:1], v[90:91], s[2:3], v[86:87]
	v_fma_f64 v[86:87], v[90:91], s[4:5], v[86:87]
	v_add_f64 v[90:91], v[2:3], v[84:85]
	v_add_f64 v[84:85], v[84:85], v[88:89]
	;; [unrolled: 1-line block ×3, first 2 shown]
	v_fma_f64 v[84:85], v[84:85], -0.5, v[2:3]
	v_fma_f64 v[2:3], v[80:81], s[4:5], v[84:85]
	v_fma_f64 v[88:89], v[80:81], s[2:3], v[84:85]
	v_mov_b32_e32 v80, 9
	v_mul_u32_u24_sdwa v81, v171, v80 dst_sel:DWORD dst_unused:UNUSED_PAD src0_sel:WORD_0 src1_sel:DWORD
	v_add_lshl_u32 v81, v81, v172, 4
	buffer_store_dword v81, off, s[28:31], 0 offset:1128 ; 4-byte Folded Spill
	ds_write_b128 v81, v[40:43]
	ds_write_b128 v81, v[44:47] offset:48
	ds_write_b128 v81, v[36:39] offset:96
	v_mul_u32_u24_sdwa v36, v173, v80 dst_sel:DWORD dst_unused:UNUSED_PAD src0_sel:WORD_0 src1_sel:DWORD
	v_add_lshl_u32 v36, v36, v174, 4
	buffer_store_dword v36, off, s[28:31], 0 offset:1124 ; 4-byte Folded Spill
	ds_write_b128 v36, v[48:51]
	ds_write_b128 v36, v[52:55] offset:48
	ds_write_b128 v36, v[32:35] offset:96
	v_mad_u16 v32, v175, 9, v176
	v_lshlrev_b32_sdwa v32, v189, v32 dst_sel:DWORD dst_unused:UNUSED_PAD src0_sel:DWORD src1_sel:WORD_0
	buffer_store_dword v32, off, s[28:31], 0 offset:1024 ; 4-byte Folded Spill
	ds_write_b128 v32, v[56:59]
	ds_write_b128 v32, v[60:63] offset:48
	ds_write_b128 v32, v[28:31] offset:96
	v_mad_u16 v28, v177, 9, v178
	v_lshlrev_b32_sdwa v28, v189, v28 dst_sel:DWORD dst_unused:UNUSED_PAD src0_sel:DWORD src1_sel:WORD_0
	;; [unrolled: 6-line block ×8, first 2 shown]
	buffer_store_dword v4, off, s[28:31], 0 offset:628 ; 4-byte Folded Spill
	ds_write_b128 v4, v[128:131]
	ds_write_b128 v4, v[0:3] offset:48
	ds_write_b128 v4, v[86:89] offset:96
	s_waitcnt lgkmcnt(0)
	s_waitcnt_vscnt null, 0x0
	s_barrier
	buffer_gl0_inv
	ds_read_b128 v[4:7], v120
	ds_read_b128 v[108:111], v120 offset:5184
	ds_read_b128 v[112:115], v120 offset:10368
	;; [unrolled: 1-line block ×29, first 2 shown]
	s_clause 0x3
	global_load_dwordx4 v[128:131], v[138:139], off offset:144
	global_load_dwordx4 v[124:127], v[138:139], off offset:128
	;; [unrolled: 1-line block ×4, first 2 shown]
	s_waitcnt vmcnt(0) lgkmcnt(28)
	v_mul_f64 v[122:123], v[110:111], v[146:147]
	v_fma_f64 v[134:135], v[108:109], v[144:145], -v[122:123]
	buffer_store_dword v144, off, s[28:31], 0 offset:672 ; 4-byte Folded Spill
	buffer_store_dword v145, off, s[28:31], 0 offset:676 ; 4-byte Folded Spill
	buffer_store_dword v146, off, s[28:31], 0 offset:680 ; 4-byte Folded Spill
	buffer_store_dword v147, off, s[28:31], 0 offset:684 ; 4-byte Folded Spill
	buffer_store_dword v140, off, s[28:31], 0 offset:688 ; 4-byte Folded Spill
	buffer_store_dword v141, off, s[28:31], 0 offset:692 ; 4-byte Folded Spill
	buffer_store_dword v142, off, s[28:31], 0 offset:696 ; 4-byte Folded Spill
	buffer_store_dword v143, off, s[28:31], 0 offset:700 ; 4-byte Folded Spill
	v_mul_f64 v[108:109], v[108:109], v[146:147]
	v_fma_f64 v[122:123], v[110:111], v[144:145], v[108:109]
	s_waitcnt lgkmcnt(27)
	v_mul_f64 v[108:109], v[114:115], v[142:143]
	v_fma_f64 v[146:147], v[112:113], v[140:141], -v[108:109]
	v_mul_f64 v[108:109], v[112:113], v[142:143]
	v_mov_b32_e32 v110, v124
	v_mov_b32_e32 v111, v125
	;; [unrolled: 1-line block ×4, first 2 shown]
	buffer_store_dword v110, off, s[28:31], 0 offset:704 ; 4-byte Folded Spill
	buffer_store_dword v111, off, s[28:31], 0 offset:708 ; 4-byte Folded Spill
	;; [unrolled: 1-line block ×8, first 2 shown]
	v_fma_f64 v[142:143], v[114:115], v[140:141], v[108:109]
	s_waitcnt lgkmcnt(26)
	v_mul_f64 v[108:109], v[118:119], v[112:113]
	v_fma_f64 v[126:127], v[116:117], v[110:111], -v[108:109]
	v_mul_f64 v[108:109], v[116:117], v[112:113]
	v_fma_f64 v[124:125], v[118:119], v[110:111], v[108:109]
	s_waitcnt lgkmcnt(25)
	v_mul_f64 v[108:109], v[106:107], v[130:131]
	v_fma_f64 v[148:149], v[104:105], v[128:129], -v[108:109]
	v_mul_f64 v[104:105], v[104:105], v[130:131]
	v_fma_f64 v[144:145], v[106:107], v[128:129], v[104:105]
	s_clause 0x3
	global_load_dwordx4 v[106:109], v[138:139], off offset:208
	global_load_dwordx4 v[110:113], v[138:139], off offset:192
	;; [unrolled: 1-line block ×4, first 2 shown]
	s_waitcnt vmcnt(0) lgkmcnt(24)
	v_mul_f64 v[104:105], v[102:103], v[152:153]
	v_fma_f64 v[130:131], v[100:101], v[150:151], -v[104:105]
	buffer_store_dword v150, off, s[28:31], 0 offset:740 ; 4-byte Folded Spill
	buffer_store_dword v151, off, s[28:31], 0 offset:744 ; 4-byte Folded Spill
	;; [unrolled: 1-line block ×16, first 2 shown]
	v_mul_f64 v[100:101], v[100:101], v[152:153]
	v_fma_f64 v[128:129], v[102:103], v[150:151], v[100:101]
	s_waitcnt lgkmcnt(23)
	v_mul_f64 v[100:101], v[98:99], v[116:117]
	v_fma_f64 v[154:155], v[96:97], v[114:115], -v[100:101]
	v_mul_f64 v[96:97], v[96:97], v[116:117]
	v_fma_f64 v[150:151], v[98:99], v[114:115], v[96:97]
	s_waitcnt lgkmcnt(22)
	v_mul_f64 v[96:97], v[94:95], v[112:113]
	v_fma_f64 v[136:137], v[92:93], v[110:111], -v[96:97]
	;; [unrolled: 5-line block ×3, first 2 shown]
	v_mul_f64 v[88:89], v[88:89], v[108:109]
	v_fma_f64 v[152:153], v[90:91], v[106:107], v[88:89]
	global_load_dwordx4 v[90:93], v[138:139], off offset:224
	s_waitcnt vmcnt(0)
	buffer_store_dword v90, off, s[28:31], 0 offset:772 ; 4-byte Folded Spill
	buffer_store_dword v91, off, s[28:31], 0 offset:776 ; 4-byte Folded Spill
	;; [unrolled: 1-line block ×4, first 2 shown]
	s_waitcnt lgkmcnt(20)
	v_mul_f64 v[88:89], v[86:87], v[92:93]
	v_fma_f64 v[140:141], v[84:85], v[90:91], -v[88:89]
	v_mul_f64 v[84:85], v[84:85], v[92:93]
	v_fma_f64 v[138:139], v[86:87], v[90:91], v[84:85]
	v_mul_lo_u16 v84, v168, 57
	v_lshrrev_b16 v163, 9, v84
	v_mul_lo_u16 v84, v163, 9
	v_sub_nc_u16 v84, v164, v84
	v_and_b32_e32 v169, 0xff, v84
	v_mad_u64_u32 v[84:85], null, 0x90, v169, s[10:11]
	s_clause 0x3
	global_load_dwordx4 v[88:91], v[84:85], off offset:144
	global_load_dwordx4 v[92:95], v[84:85], off offset:128
	;; [unrolled: 1-line block ×4, first 2 shown]
	s_waitcnt vmcnt(0) lgkmcnt(18)
	v_mul_f64 v[86:87], v[82:83], v[102:103]
	v_fma_f64 v[158:159], v[80:81], v[100:101], -v[86:87]
	buffer_store_dword v100, off, s[28:31], 0 offset:892 ; 4-byte Folded Spill
	buffer_store_dword v101, off, s[28:31], 0 offset:896 ; 4-byte Folded Spill
	;; [unrolled: 1-line block ×16, first 2 shown]
	v_mul_f64 v[80:81], v[80:81], v[102:103]
	v_fma_f64 v[80:81], v[82:83], v[100:101], v[80:81]
	s_waitcnt lgkmcnt(17)
	v_mul_f64 v[82:83], v[78:79], v[98:99]
	v_fma_f64 v[82:83], v[76:77], v[96:97], -v[82:83]
	v_mul_f64 v[76:77], v[76:77], v[98:99]
	v_fma_f64 v[78:79], v[78:79], v[96:97], v[76:77]
	s_waitcnt lgkmcnt(16)
	v_mul_f64 v[76:77], v[74:75], v[94:95]
	v_fma_f64 v[76:77], v[72:73], v[92:93], -v[76:77]
	v_mul_f64 v[72:73], v[72:73], v[94:95]
	v_fma_f64 v[72:73], v[74:75], v[92:93], v[72:73]
	s_waitcnt lgkmcnt(15)
	v_mul_f64 v[74:75], v[70:71], v[90:91]
	v_fma_f64 v[74:75], v[68:69], v[88:89], -v[74:75]
	v_mul_f64 v[68:69], v[68:69], v[90:91]
	v_fma_f64 v[70:71], v[70:71], v[88:89], v[68:69]
	s_clause 0x3
	global_load_dwordx4 v[86:89], v[84:85], off offset:208
	global_load_dwordx4 v[90:93], v[84:85], off offset:192
	;; [unrolled: 1-line block ×4, first 2 shown]
	s_waitcnt vmcnt(0) lgkmcnt(14)
	v_mul_f64 v[68:69], v[66:67], v[100:101]
	v_fma_f64 v[68:69], v[64:65], v[98:99], -v[68:69]
	buffer_store_dword v98, off, s[28:31], 0 offset:1060 ; 4-byte Folded Spill
	buffer_store_dword v99, off, s[28:31], 0 offset:1064 ; 4-byte Folded Spill
	;; [unrolled: 1-line block ×16, first 2 shown]
	global_load_dwordx4 v[244:247], v[84:85], off offset:224
	v_mul_f64 v[64:65], v[64:65], v[100:101]
	v_fma_f64 v[64:65], v[66:67], v[98:99], v[64:65]
	s_waitcnt lgkmcnt(13)
	v_mul_f64 v[66:67], v[62:63], v[96:97]
	v_fma_f64 v[66:67], v[60:61], v[94:95], -v[66:67]
	v_mul_f64 v[60:61], v[60:61], v[96:97]
	v_fma_f64 v[62:63], v[62:63], v[94:95], v[60:61]
	s_waitcnt lgkmcnt(12)
	v_mul_f64 v[60:61], v[58:59], v[92:93]
	v_fma_f64 v[60:61], v[56:57], v[90:91], -v[60:61]
	;; [unrolled: 5-line block ×3, first 2 shown]
	v_mul_f64 v[52:53], v[52:53], v[88:89]
	v_fma_f64 v[54:55], v[54:55], v[86:87], v[52:53]
	s_waitcnt vmcnt(0) lgkmcnt(10)
	v_mul_f64 v[52:53], v[50:51], v[246:247]
	v_fma_f64 v[52:53], v[48:49], v[244:245], -v[52:53]
	v_mul_f64 v[48:49], v[48:49], v[246:247]
	v_fma_f64 v[48:49], v[50:51], v[244:245], v[48:49]
	v_mov_b32_e32 v50, 0xe38f
	v_mul_u32_u24_sdwa v50, v165, v50 dst_sel:DWORD dst_unused:UNUSED_PAD src0_sel:WORD_0 src1_sel:DWORD
	v_lshrrev_b32_e32 v170, 19, v50
	v_mul_lo_u16 v50, v170, 9
	v_sub_nc_u16 v171, v165, v50
	v_mul_lo_u16 v50, 0x90, v171
	v_and_b32_e32 v50, 0xffff, v50
	v_add_co_u32 v50, s6, s10, v50
	v_add_co_ci_u32_e64 v51, null, s11, 0, s6
	s_clause 0x8
	global_load_dwordx4 v[236:239], v[50:51], off offset:144
	global_load_dwordx4 v[232:235], v[50:51], off offset:128
	;; [unrolled: 1-line block ×9, first 2 shown]
	s_mov_b32 s6, 0x134454ff
	s_mov_b32 s7, 0x3fee6f0e
	;; [unrolled: 1-line block ×3, first 2 shown]
	s_waitcnt vmcnt(0) lgkmcnt(0)
	s_waitcnt_vscnt null, 0x0
	s_barrier
	buffer_gl0_inv
	v_mul_f64 v[84:85], v[42:43], v[218:219]
	v_fma_f64 v[100:101], v[40:41], v[216:217], -v[84:85]
	v_mul_f64 v[40:41], v[40:41], v[218:219]
	v_fma_f64 v[84:85], v[42:43], v[216:217], v[40:41]
	v_mul_f64 v[40:41], v[38:39], v[230:231]
	v_fma_f64 v[108:109], v[36:37], v[228:229], -v[40:41]
	v_mul_f64 v[36:37], v[36:37], v[230:231]
	v_fma_f64 v[104:105], v[38:39], v[228:229], v[36:37]
	;; [unrolled: 4-line block ×6, first 2 shown]
	v_mul_f64 v[20:21], v[18:19], v[206:207]
	v_fma_f64 v[96:97], v[16:17], v[204:205], -v[20:21]
	v_mul_f64 v[16:17], v[16:17], v[206:207]
	v_add_f64 v[20:21], v[132:133], -v[138:139]
	v_fma_f64 v[94:95], v[18:19], v[204:205], v[16:17]
	v_mul_f64 v[16:17], v[14:15], v[210:211]
	v_add_f64 v[18:19], v[156:157], -v[154:155]
	v_fma_f64 v[118:119], v[12:13], v[208:209], -v[16:17]
	v_mul_f64 v[12:13], v[12:13], v[210:211]
	v_add_f64 v[16:17], v[146:147], -v[148:149]
	v_fma_f64 v[114:115], v[14:15], v[208:209], v[12:13]
	v_mul_f64 v[12:13], v[10:11], v[182:183]
	v_add_f64 v[14:15], v[144:145], -v[150:151]
	v_add_f64 v[16:17], v[16:17], v[18:19]
	v_add_f64 v[18:19], v[138:139], -v[132:133]
	v_fma_f64 v[102:103], v[8:9], v[180:181], -v[12:13]
	v_mul_f64 v[8:9], v[8:9], v[182:183]
	v_fma_f64 v[98:99], v[10:11], v[180:181], v[8:9]
	v_add_f64 v[8:9], v[4:5], v[146:147]
	v_add_f64 v[10:11], v[142:143], -v[152:153]
	v_add_f64 v[8:9], v[8:9], v[148:149]
	v_add_f64 v[8:9], v[8:9], v[154:155]
	;; [unrolled: 1-line block ×4, first 2 shown]
	v_fma_f64 v[8:9], v[8:9], -0.5, v[4:5]
	v_fma_f64 v[12:13], v[10:11], s[6:7], v[8:9]
	v_fma_f64 v[8:9], v[10:11], s[16:17], v[8:9]
	;; [unrolled: 1-line block ×6, first 2 shown]
	v_add_f64 v[8:9], v[146:147], v[156:157]
	v_add_f64 v[12:13], v[148:149], -v[146:147]
	v_add_f64 v[16:17], v[154:155], -v[156:157]
	v_fma_f64 v[4:5], v[8:9], -0.5, v[4:5]
	v_add_f64 v[12:13], v[12:13], v[16:17]
	v_add_f64 v[16:17], v[152:153], -v[150:151]
	v_fma_f64 v[8:9], v[14:15], s[16:17], v[4:5]
	v_fma_f64 v[4:5], v[14:15], s[6:7], v[4:5]
	v_add_f64 v[14:15], v[142:143], -v[144:145]
	v_fma_f64 v[8:9], v[10:11], s[8:9], v[8:9]
	v_fma_f64 v[4:5], v[10:11], s[18:19], v[4:5]
	v_add_f64 v[14:15], v[14:15], v[16:17]
	v_add_f64 v[16:17], v[136:137], -v[140:141]
	v_fma_f64 v[28:29], v[12:13], s[14:15], v[8:9]
	v_fma_f64 v[38:39], v[12:13], s[14:15], v[4:5]
	v_add_f64 v[4:5], v[6:7], v[142:143]
	v_add_f64 v[8:9], v[146:147], -v[156:157]
	v_add_f64 v[12:13], v[148:149], -v[154:155]
	v_add_f64 v[4:5], v[4:5], v[144:145]
	v_add_f64 v[4:5], v[4:5], v[150:151]
	;; [unrolled: 1-line block ×4, first 2 shown]
	v_fma_f64 v[4:5], v[4:5], -0.5, v[6:7]
	v_fma_f64 v[10:11], v[8:9], s[16:17], v[4:5]
	v_fma_f64 v[4:5], v[8:9], s[6:7], v[4:5]
	;; [unrolled: 1-line block ×6, first 2 shown]
	v_add_f64 v[4:5], v[142:143], v[152:153]
	v_add_f64 v[10:11], v[144:145], -v[142:143]
	v_add_f64 v[14:15], v[150:151], -v[152:153]
	v_fma_f64 v[4:5], v[4:5], -0.5, v[6:7]
	v_add_f64 v[10:11], v[10:11], v[14:15]
	v_add_f64 v[14:15], v[140:141], -v[136:137]
	v_fma_f64 v[6:7], v[12:13], s[6:7], v[4:5]
	v_fma_f64 v[4:5], v[12:13], s[16:17], v[4:5]
	v_add_f64 v[12:13], v[126:127], -v[130:131]
	v_fma_f64 v[6:7], v[8:9], s[18:19], v[6:7]
	v_fma_f64 v[4:5], v[8:9], s[8:9], v[4:5]
	v_add_f64 v[12:13], v[12:13], v[14:15]
	v_fma_f64 v[142:143], v[10:11], s[14:15], v[6:7]
	v_fma_f64 v[144:145], v[10:11], s[14:15], v[4:5]
	v_add_f64 v[4:5], v[134:135], v[126:127]
	v_add_f64 v[6:7], v[124:125], -v[138:139]
	v_add_f64 v[10:11], v[128:129], -v[132:133]
	v_add_f64 v[4:5], v[4:5], v[130:131]
	v_add_f64 v[4:5], v[4:5], v[136:137]
	;; [unrolled: 1-line block ×4, first 2 shown]
	v_fma_f64 v[4:5], v[4:5], -0.5, v[134:135]
	v_fma_f64 v[8:9], v[6:7], s[6:7], v[4:5]
	v_fma_f64 v[4:5], v[6:7], s[16:17], v[4:5]
	;; [unrolled: 1-line block ×6, first 2 shown]
	v_add_f64 v[4:5], v[126:127], v[140:141]
	v_add_f64 v[12:13], v[130:131], -v[126:127]
	v_fma_f64 v[4:5], v[4:5], -0.5, v[134:135]
	v_add_f64 v[12:13], v[12:13], v[16:17]
	v_add_f64 v[16:17], v[124:125], -v[128:129]
	v_fma_f64 v[8:9], v[10:11], s[16:17], v[4:5]
	v_fma_f64 v[4:5], v[10:11], s[6:7], v[4:5]
	v_add_f64 v[16:17], v[16:17], v[18:19]
	v_add_f64 v[18:19], v[128:129], -v[124:125]
	v_fma_f64 v[8:9], v[6:7], s[8:9], v[8:9]
	v_fma_f64 v[4:5], v[6:7], s[18:19], v[4:5]
	v_add_f64 v[18:19], v[18:19], v[20:21]
	v_add_f64 v[20:21], v[24:25], v[32:33]
	v_fma_f64 v[40:41], v[12:13], s[14:15], v[8:9]
	v_fma_f64 v[6:7], v[12:13], s[14:15], v[4:5]
	v_add_f64 v[4:5], v[122:123], v[124:125]
	v_add_f64 v[8:9], v[126:127], -v[140:141]
	v_add_f64 v[12:13], v[130:131], -v[136:137]
	v_add_f64 v[4:5], v[4:5], v[128:129]
	v_add_f64 v[4:5], v[4:5], v[132:133]
	v_add_f64 v[42:43], v[4:5], v[138:139]
	v_add_f64 v[4:5], v[128:129], v[132:133]
	v_add_f64 v[22:23], v[34:35], v[42:43]
	v_fma_f64 v[4:5], v[4:5], -0.5, v[122:123]
	v_add_f64 v[42:43], v[34:35], -v[42:43]
	v_fma_f64 v[10:11], v[8:9], s[16:17], v[4:5]
	v_fma_f64 v[4:5], v[8:9], s[6:7], v[4:5]
	v_fma_f64 v[10:11], v[12:13], s[18:19], v[10:11]
	v_fma_f64 v[4:5], v[12:13], s[8:9], v[4:5]
	v_fma_f64 v[10:11], v[16:17], s[14:15], v[10:11]
	v_fma_f64 v[126:127], v[16:17], s[14:15], v[4:5]
	v_add_f64 v[4:5], v[124:125], v[138:139]
	v_fma_f64 v[4:5], v[4:5], -0.5, v[122:123]
	v_fma_f64 v[16:17], v[12:13], s[6:7], v[4:5]
	v_fma_f64 v[4:5], v[12:13], s[16:17], v[4:5]
	;; [unrolled: 1-line block ×6, first 2 shown]
	v_mul_f64 v[4:5], v[10:11], s[8:9]
	v_fma_f64 v[128:129], v[14:15], s[20:21], v[4:5]
	v_mul_f64 v[4:5], v[122:123], s[6:7]
	v_mul_f64 v[14:15], v[14:15], s[18:19]
	v_add_f64 v[16:17], v[26:27], v[128:129]
	v_fma_f64 v[130:131], v[40:41], s[14:15], v[4:5]
	v_mul_f64 v[4:5], v[6:7], s[22:23]
	v_fma_f64 v[136:137], v[10:11], s[20:21], v[14:15]
	v_mul_f64 v[10:11], v[40:41], s[16:17]
	v_add_f64 v[40:41], v[24:25], -v[32:33]
	v_add_f64 v[12:13], v[28:29], v[130:131]
	v_fma_f64 v[132:133], v[124:125], s[6:7], v[4:5]
	v_add_f64 v[18:19], v[50:51], v[136:137]
	v_add_f64 v[32:33], v[28:29], -v[130:131]
	v_fma_f64 v[122:123], v[122:123], s[14:15], v[10:11]
	v_mul_f64 v[10:11], v[124:125], s[22:23]
	v_mul_f64 v[4:5], v[36:37], s[24:25]
	v_add_f64 v[130:131], v[82:83], -v[74:75]
	v_add_f64 v[8:9], v[38:39], v[132:133]
	v_add_f64 v[28:29], v[38:39], -v[132:133]
	v_add_f64 v[38:39], v[50:51], -v[136:137]
	v_add_f64 v[50:51], v[44:45], v[82:83]
	v_fma_f64 v[124:125], v[6:7], s[16:17], v[10:11]
	v_mul_f64 v[6:7], v[126:127], s[24:25]
	v_fma_f64 v[134:135], v[126:127], s[8:9], v[4:5]
	v_add_f64 v[14:15], v[142:143], v[122:123]
	v_add_f64 v[34:35], v[142:143], -v[122:123]
	v_add_f64 v[122:123], v[78:79], -v[54:55]
	;; [unrolled: 1-line block ×3, first 2 shown]
	v_add_f64 v[50:51], v[50:51], v[74:75]
	v_add_f64 v[10:11], v[144:145], v[124:125]
	v_fma_f64 v[126:127], v[36:37], s[18:19], v[6:7]
	v_add_f64 v[36:37], v[26:27], -v[128:129]
	v_add_f64 v[4:5], v[30:31], v[134:135]
	v_add_f64 v[24:25], v[30:31], -v[134:135]
	v_add_f64 v[30:31], v[144:145], -v[124:125]
	v_add_f64 v[132:133], v[130:131], v[132:133]
	v_add_f64 v[134:135], v[66:67], -v[58:59]
	v_add_f64 v[50:51], v[50:51], v[66:67]
	v_add_f64 v[6:7], v[146:147], v[126:127]
	v_add_f64 v[26:27], v[146:147], -v[126:127]
	v_add_f64 v[126:127], v[70:71], -v[62:63]
	v_add_f64 v[128:129], v[50:51], v[58:59]
	v_add_f64 v[50:51], v[74:75], v[66:67]
	v_fma_f64 v[50:51], v[50:51], -0.5, v[44:45]
	v_fma_f64 v[124:125], v[122:123], s[6:7], v[50:51]
	v_fma_f64 v[50:51], v[122:123], s[16:17], v[50:51]
	;; [unrolled: 1-line block ×6, first 2 shown]
	v_add_f64 v[50:51], v[82:83], v[58:59]
	v_add_f64 v[124:125], v[74:75], -v[82:83]
	v_fma_f64 v[44:45], v[50:51], -0.5, v[44:45]
	v_add_f64 v[124:125], v[124:125], v[134:135]
	v_fma_f64 v[50:51], v[126:127], s[16:17], v[44:45]
	v_fma_f64 v[44:45], v[126:127], s[6:7], v[44:45]
	;; [unrolled: 1-line block ×6, first 2 shown]
	v_add_f64 v[44:45], v[46:47], v[78:79]
	v_add_f64 v[50:51], v[82:83], -v[58:59]
	v_add_f64 v[82:83], v[74:75], -v[66:67]
	;; [unrolled: 1-line block ×4, first 2 shown]
	v_add_f64 v[44:45], v[44:45], v[70:71]
	v_add_f64 v[66:67], v[66:67], v[74:75]
	;; [unrolled: 1-line block ×5, first 2 shown]
	v_fma_f64 v[44:45], v[44:45], -0.5, v[46:47]
	v_fma_f64 v[58:59], v[50:51], s[16:17], v[44:45]
	v_fma_f64 v[44:45], v[50:51], s[6:7], v[44:45]
	;; [unrolled: 1-line block ×6, first 2 shown]
	v_add_f64 v[44:45], v[78:79], v[54:55]
	v_add_f64 v[58:59], v[70:71], -v[78:79]
	v_add_f64 v[54:55], v[62:63], -v[54:55]
	;; [unrolled: 1-line block ×4, first 2 shown]
	v_fma_f64 v[44:45], v[44:45], -0.5, v[46:47]
	v_add_f64 v[54:55], v[58:59], v[54:55]
	v_add_f64 v[58:59], v[76:77], -v[68:69]
	v_fma_f64 v[46:47], v[82:83], s[6:7], v[44:45]
	v_fma_f64 v[44:45], v[82:83], s[16:17], v[44:45]
	v_add_f64 v[58:59], v[58:59], v[62:63]
	v_add_f64 v[62:63], v[68:69], -v[76:77]
	v_fma_f64 v[46:47], v[50:51], s[18:19], v[46:47]
	v_fma_f64 v[44:45], v[50:51], s[8:9], v[44:45]
	v_add_f64 v[62:63], v[62:63], v[78:79]
	v_fma_f64 v[74:75], v[54:55], s[14:15], v[46:47]
	v_fma_f64 v[70:71], v[54:55], s[14:15], v[44:45]
	v_add_f64 v[44:45], v[158:159], v[76:77]
	v_add_f64 v[46:47], v[72:73], -v[48:49]
	v_add_f64 v[54:55], v[64:65], -v[56:57]
	v_add_f64 v[44:45], v[44:45], v[68:69]
	v_add_f64 v[44:45], v[44:45], v[60:61]
	;; [unrolled: 1-line block ×4, first 2 shown]
	v_fma_f64 v[44:45], v[44:45], -0.5, v[158:159]
	v_fma_f64 v[50:51], v[46:47], s[6:7], v[44:45]
	v_fma_f64 v[44:45], v[46:47], s[16:17], v[44:45]
	;; [unrolled: 1-line block ×6, first 2 shown]
	v_add_f64 v[44:45], v[76:77], v[52:53]
	v_add_f64 v[52:53], v[76:77], -v[52:53]
	v_fma_f64 v[44:45], v[44:45], -0.5, v[158:159]
	v_fma_f64 v[58:59], v[54:55], s[16:17], v[44:45]
	v_fma_f64 v[44:45], v[54:55], s[6:7], v[44:45]
	;; [unrolled: 1-line block ×6, first 2 shown]
	v_add_f64 v[44:45], v[80:81], v[72:73]
	v_add_f64 v[58:59], v[68:69], -v[60:61]
	v_add_f64 v[60:61], v[72:73], -v[64:65]
	;; [unrolled: 1-line block ×3, first 2 shown]
	v_add_f64 v[44:45], v[44:45], v[64:65]
	v_add_f64 v[60:61], v[60:61], v[62:63]
	v_add_f64 v[62:63], v[64:65], -v[72:73]
	v_add_f64 v[44:45], v[44:45], v[56:57]
	v_add_f64 v[142:143], v[44:45], v[48:49]
	;; [unrolled: 1-line block ×3, first 2 shown]
	v_fma_f64 v[44:45], v[44:45], -0.5, v[80:81]
	v_fma_f64 v[54:55], v[52:53], s[16:17], v[44:45]
	v_fma_f64 v[44:45], v[52:53], s[6:7], v[44:45]
	;; [unrolled: 1-line block ×6, first 2 shown]
	v_add_f64 v[44:45], v[72:73], v[48:49]
	v_add_f64 v[48:49], v[56:57], -v[48:49]
	v_fma_f64 v[44:45], v[44:45], -0.5, v[80:81]
	v_add_f64 v[48:49], v[62:63], v[48:49]
	v_add_f64 v[80:81], v[128:129], -v[82:83]
	v_add_f64 v[62:63], v[140:141], v[142:143]
	v_fma_f64 v[60:61], v[58:59], s[6:7], v[44:45]
	v_fma_f64 v[44:45], v[58:59], s[16:17], v[44:45]
	;; [unrolled: 1-line block ×6, first 2 shown]
	v_mul_f64 v[44:45], v[54:55], s[8:9]
	v_add_f64 v[60:61], v[128:129], v[82:83]
	v_add_f64 v[128:129], v[108:109], -v[110:111]
	v_add_f64 v[82:83], v[140:141], -v[142:143]
	v_fma_f64 v[76:77], v[50:51], s[20:21], v[44:45]
	v_mul_f64 v[50:51], v[50:51], s[18:19]
	v_mul_f64 v[44:45], v[64:65], s[6:7]
	v_add_f64 v[56:57], v[130:131], v[76:77]
	v_fma_f64 v[78:79], v[54:55], s[20:21], v[50:51]
	v_mul_f64 v[50:51], v[124:125], s[16:17]
	v_fma_f64 v[144:145], v[124:125], s[14:15], v[44:45]
	v_mul_f64 v[44:45], v[46:47], s[22:23]
	v_add_f64 v[76:77], v[130:131], -v[76:77]
	v_add_f64 v[130:131], v[104:105], -v[114:115]
	v_add_f64 v[58:59], v[122:123], v[78:79]
	v_add_f64 v[78:79], v[122:123], -v[78:79]
	v_add_f64 v[122:123], v[0:1], v[108:109]
	v_fma_f64 v[126:127], v[64:65], s[14:15], v[50:51]
	v_mul_f64 v[50:51], v[72:73], s[22:23]
	v_fma_f64 v[146:147], v[72:73], s[6:7], v[44:45]
	v_mul_f64 v[44:45], v[134:135], s[24:25]
	v_add_f64 v[52:53], v[136:137], v[144:145]
	v_add_f64 v[72:73], v[136:137], -v[144:145]
	v_add_f64 v[136:137], v[116:117], -v[118:119]
	v_add_f64 v[122:123], v[122:123], v[110:111]
	v_add_f64 v[54:55], v[74:75], v[126:127]
	v_fma_f64 v[124:125], v[46:47], s[16:17], v[50:51]
	v_mul_f64 v[46:47], v[68:69], s[24:25]
	v_fma_f64 v[148:149], v[68:69], s[8:9], v[44:45]
	v_add_f64 v[74:75], v[74:75], -v[126:127]
	v_add_f64 v[48:49], v[138:139], v[146:147]
	v_add_f64 v[68:69], v[138:139], -v[146:147]
	v_add_f64 v[122:123], v[122:123], v[116:117]
	v_add_f64 v[50:51], v[70:71], v[124:125]
	v_add_f64 v[70:71], v[70:71], -v[124:125]
	v_fma_f64 v[134:135], v[134:135], s[18:19], v[46:47]
	v_add_f64 v[44:45], v[132:133], v[148:149]
	v_add_f64 v[64:65], v[132:133], -v[148:149]
	v_add_f64 v[132:133], v[106:107], -v[112:113]
	v_add_f64 v[124:125], v[122:123], v[118:119]
	v_add_f64 v[122:123], v[110:111], v[116:117]
	;; [unrolled: 1-line block ×3, first 2 shown]
	v_add_f64 v[66:67], v[66:67], -v[134:135]
	v_add_f64 v[134:135], v[118:119], -v[116:117]
	;; [unrolled: 1-line block ×3, first 2 shown]
	v_fma_f64 v[122:123], v[122:123], -0.5, v[0:1]
	v_add_f64 v[128:129], v[128:129], v[134:135]
	v_add_f64 v[134:135], v[110:111], -v[108:109]
	v_fma_f64 v[126:127], v[130:131], s[6:7], v[122:123]
	v_fma_f64 v[122:123], v[130:131], s[16:17], v[122:123]
	v_add_f64 v[134:135], v[134:135], v[136:137]
	v_fma_f64 v[126:127], v[132:133], s[8:9], v[126:127]
	v_fma_f64 v[122:123], v[132:133], s[18:19], v[122:123]
	;; [unrolled: 1-line block ×4, first 2 shown]
	v_add_f64 v[122:123], v[108:109], v[118:119]
	v_add_f64 v[108:109], v[108:109], -v[118:119]
	v_fma_f64 v[0:1], v[122:123], -0.5, v[0:1]
	v_fma_f64 v[122:123], v[132:133], s[16:17], v[0:1]
	v_fma_f64 v[0:1], v[132:133], s[6:7], v[0:1]
	;; [unrolled: 1-line block ×6, first 2 shown]
	v_add_f64 v[0:1], v[2:3], v[104:105]
	v_add_f64 v[122:123], v[114:115], -v[112:113]
	v_add_f64 v[0:1], v[0:1], v[106:107]
	v_add_f64 v[0:1], v[0:1], v[112:113]
	v_add_f64 v[134:135], v[0:1], v[114:115]
	v_add_f64 v[0:1], v[106:107], v[112:113]
	v_fma_f64 v[0:1], v[0:1], -0.5, v[2:3]
	v_fma_f64 v[118:119], v[108:109], s[16:17], v[0:1]
	v_fma_f64 v[0:1], v[108:109], s[6:7], v[0:1]
	;; [unrolled: 1-line block ×3, first 2 shown]
	v_add_f64 v[118:119], v[104:105], -v[106:107]
	v_fma_f64 v[0:1], v[116:117], s[8:9], v[0:1]
	v_add_f64 v[118:119], v[118:119], v[122:123]
	v_fma_f64 v[130:131], v[118:119], s[14:15], v[0:1]
	v_add_f64 v[0:1], v[104:105], v[114:115]
	v_add_f64 v[104:105], v[106:107], -v[104:105]
	v_add_f64 v[106:107], v[112:113], -v[114:115]
	v_fma_f64 v[122:123], v[118:119], s[14:15], v[110:111]
	v_add_f64 v[112:113], v[90:91], -v[94:95]
	v_add_f64 v[114:115], v[88:89], -v[92:93]
	;; [unrolled: 1-line block ×3, first 2 shown]
	v_fma_f64 v[0:1], v[0:1], -0.5, v[2:3]
	v_add_f64 v[104:105], v[104:105], v[106:107]
	v_fma_f64 v[2:3], v[116:117], s[6:7], v[0:1]
	v_fma_f64 v[0:1], v[116:117], s[16:17], v[0:1]
	v_add_f64 v[116:117], v[102:103], -v[96:97]
	v_fma_f64 v[2:3], v[108:109], s[18:19], v[2:3]
	v_fma_f64 v[0:1], v[108:109], s[8:9], v[0:1]
	v_add_f64 v[114:115], v[114:115], v[116:117]
	v_add_f64 v[116:117], v[92:93], -v[88:89]
	v_fma_f64 v[110:111], v[104:105], s[14:15], v[2:3]
	v_fma_f64 v[106:107], v[104:105], s[14:15], v[0:1]
	v_add_f64 v[0:1], v[100:101], v[88:89]
	v_add_f64 v[2:3], v[86:87], -v[98:99]
	v_add_f64 v[116:117], v[116:117], v[118:119]
	v_add_f64 v[0:1], v[0:1], v[92:93]
	;; [unrolled: 1-line block ×5, first 2 shown]
	v_add_f64 v[92:93], v[92:93], -v[96:97]
	v_fma_f64 v[0:1], v[0:1], -0.5, v[100:101]
	v_fma_f64 v[108:109], v[2:3], s[6:7], v[0:1]
	v_fma_f64 v[0:1], v[2:3], s[16:17], v[0:1]
	;; [unrolled: 1-line block ×6, first 2 shown]
	v_add_f64 v[0:1], v[88:89], v[102:103]
	v_add_f64 v[88:89], v[88:89], -v[102:103]
	v_fma_f64 v[0:1], v[0:1], -0.5, v[100:101]
	v_fma_f64 v[100:101], v[112:113], s[16:17], v[0:1]
	v_fma_f64 v[0:1], v[112:113], s[6:7], v[0:1]
	v_add_f64 v[112:113], v[98:99], -v[94:95]
	v_fma_f64 v[100:101], v[2:3], s[8:9], v[100:101]
	v_fma_f64 v[0:1], v[2:3], s[18:19], v[0:1]
	;; [unrolled: 1-line block ×4, first 2 shown]
	v_add_f64 v[0:1], v[84:85], v[86:87]
	v_add_f64 v[116:117], v[124:125], -v[104:105]
	v_add_f64 v[0:1], v[0:1], v[90:91]
	v_add_f64 v[0:1], v[0:1], v[94:95]
	;; [unrolled: 1-line block ×4, first 2 shown]
	v_fma_f64 v[0:1], v[0:1], -0.5, v[84:85]
	v_fma_f64 v[102:103], v[88:89], s[16:17], v[0:1]
	v_fma_f64 v[0:1], v[88:89], s[6:7], v[0:1]
	;; [unrolled: 1-line block ×3, first 2 shown]
	v_add_f64 v[102:103], v[86:87], -v[90:91]
	v_fma_f64 v[0:1], v[92:93], s[8:9], v[0:1]
	v_add_f64 v[102:103], v[102:103], v[112:113]
	v_fma_f64 v[112:113], v[102:103], s[14:15], v[96:97]
	v_fma_f64 v[102:103], v[102:103], s[14:15], v[0:1]
	v_add_f64 v[0:1], v[86:87], v[98:99]
	v_add_f64 v[86:87], v[90:91], -v[86:87]
	v_add_f64 v[90:91], v[94:95], -v[98:99]
	v_mul_f64 v[94:95], v[108:109], s[18:19]
	v_add_f64 v[96:97], v[124:125], v[104:105]
	v_add_f64 v[98:99], v[134:135], v[118:119]
	v_add_f64 v[118:119], v[134:135], -v[118:119]
	v_fma_f64 v[0:1], v[0:1], -0.5, v[84:85]
	v_add_f64 v[86:87], v[86:87], v[90:91]
	v_fma_f64 v[146:147], v[112:113], s[20:21], v[94:95]
	v_fma_f64 v[84:85], v[92:93], s[6:7], v[0:1]
	;; [unrolled: 1-line block ×3, first 2 shown]
	v_add_f64 v[94:95], v[122:123], v[146:147]
	v_fma_f64 v[84:85], v[88:89], s[18:19], v[84:85]
	v_fma_f64 v[0:1], v[88:89], s[8:9], v[0:1]
	v_fma_f64 v[90:91], v[86:87], s[14:15], v[84:85]
	v_fma_f64 v[86:87], v[86:87], s[14:15], v[0:1]
	v_mul_f64 v[0:1], v[112:113], s[8:9]
	v_fma_f64 v[138:139], v[108:109], s[20:21], v[0:1]
	v_mul_f64 v[0:1], v[90:91], s[6:7]
	v_add_f64 v[92:93], v[126:127], v[138:139]
	v_fma_f64 v[140:141], v[100:101], s[14:15], v[0:1]
	v_mul_f64 v[0:1], v[2:3], s[22:23]
	v_mul_f64 v[100:101], v[100:101], s[16:17]
	v_add_f64 v[112:113], v[126:127], -v[138:139]
	v_add_f64 v[88:89], v[136:137], v[140:141]
	v_fma_f64 v[142:143], v[86:87], s[6:7], v[0:1]
	v_mul_f64 v[86:87], v[86:87], s[22:23]
	v_mul_f64 v[0:1], v[114:115], s[24:25]
	v_fma_f64 v[148:149], v[90:91], s[14:15], v[100:101]
	v_add_f64 v[108:109], v[136:137], -v[140:141]
	v_add_f64 v[84:85], v[132:133], v[142:143]
	v_fma_f64 v[150:151], v[2:3], s[16:17], v[86:87]
	v_mul_f64 v[2:3], v[102:103], s[24:25]
	v_fma_f64 v[144:145], v[102:103], s[8:9], v[0:1]
	v_add_f64 v[90:91], v[110:111], v[148:149]
	v_add_f64 v[110:111], v[110:111], -v[148:149]
	v_add_f64 v[104:105], v[132:133], -v[142:143]
	v_add_f64 v[86:87], v[106:107], v[150:151]
	v_fma_f64 v[102:103], v[114:115], s[18:19], v[2:3]
	v_add_f64 v[114:115], v[122:123], -v[146:147]
	v_mov_b32_e32 v122, 0x5a
	v_add_f64 v[0:1], v[128:129], v[144:145]
	v_add_f64 v[106:107], v[106:107], -v[150:151]
	v_add_f64 v[100:101], v[128:129], -v[144:145]
	v_mul_u32_u24_sdwa v123, v160, v122 dst_sel:DWORD dst_unused:UNUSED_PAD src0_sel:WORD_0 src1_sel:DWORD
	v_add_lshl_u32 v160, v123, v161, 4
	ds_write_b128 v160, v[20:23]
	ds_write_b128 v160, v[16:19] offset:144
	ds_write_b128 v160, v[12:15] offset:288
	;; [unrolled: 1-line block ×9, first 2 shown]
	v_mul_u32_u24_sdwa v4, v163, v122 dst_sel:DWORD dst_unused:UNUSED_PAD src0_sel:WORD_0 src1_sel:DWORD
	v_add_nc_u32_e32 v122, 0xffffffa6, v191
	v_add_f64 v[2:3], v[130:131], v[102:103]
	v_add_f64 v[102:103], v[130:131], -v[102:103]
	v_cndmask_b32_e32 v190, v122, v191, vcc_lo
	v_add_lshl_u32 v161, v4, v169, 4
	v_mad_u16 v4, 0x5a, v170, v171
	ds_write_b128 v161, v[60:63]
	ds_write_b128 v161, v[56:59] offset:144
	ds_write_b128 v161, v[52:55] offset:288
	;; [unrolled: 1-line block ×9, first 2 shown]
	v_mul_i32_i24_e32 v122, 0x50, v190
	v_mul_hi_i32_i24_e32 v123, 0x50, v190
	v_lshlrev_b32_sdwa v163, v189, v4 dst_sel:DWORD dst_unused:UNUSED_PAD src0_sel:DWORD src1_sel:WORD_0
	ds_write_b128 v163, v[96:99]
	ds_write_b128 v163, v[92:95] offset:144
	ds_write_b128 v163, v[88:91] offset:288
	;; [unrolled: 1-line block ×9, first 2 shown]
	v_add_co_u32 v122, vcc_lo, s10, v122
	v_add_co_ci_u32_e32 v123, vcc_lo, s11, v123, vcc_lo
	s_waitcnt lgkmcnt(0)
	s_barrier
	buffer_gl0_inv
	ds_read_b128 v[12:15], v120
	ds_read_b128 v[100:103], v120 offset:8640
	ds_read_b128 v[104:107], v120 offset:17280
	;; [unrolled: 1-line block ×29, first 2 shown]
	buffer_store_dword v215, off, s[28:31], 0 offset:488 ; 4-byte Folded Spill
	s_clause 0x3
	global_load_dwordx4 v[126:129], v[122:123], off offset:1440
	global_load_dwordx4 v[130:133], v[122:123], off offset:1424
	;; [unrolled: 1-line block ×4, first 2 shown]
	s_waitcnt vmcnt(0)
	buffer_store_dword v140, off, s[28:31], 0 offset:1132 ; 4-byte Folded Spill
	buffer_store_dword v141, off, s[28:31], 0 offset:1136 ; 4-byte Folded Spill
	;; [unrolled: 1-line block ×16, first 2 shown]
	v_cmp_lt_u16_e32 vcc_lo, 0x59, v188
	s_waitcnt lgkmcnt(28)
	v_mul_f64 v[124:125], v[102:103], v[142:143]
	v_fma_f64 v[144:145], v[100:101], v[140:141], -v[124:125]
	v_mul_f64 v[100:101], v[100:101], v[142:143]
	v_fma_f64 v[138:139], v[102:103], v[140:141], v[100:101]
	s_waitcnt lgkmcnt(27)
	v_mul_f64 v[100:101], v[106:107], v[136:137]
	v_fma_f64 v[154:155], v[104:105], v[134:135], -v[100:101]
	v_mul_f64 v[100:101], v[104:105], v[136:137]
	global_load_dwordx4 v[102:105], v[122:123], off offset:1456
	s_waitcnt vmcnt(0)
	buffer_store_dword v102, off, s[28:31], 0 offset:1164 ; 4-byte Folded Spill
	buffer_store_dword v103, off, s[28:31], 0 offset:1168 ; 4-byte Folded Spill
	;; [unrolled: 1-line block ×4, first 2 shown]
	v_fma_f64 v[156:157], v[106:107], v[134:135], v[100:101]
	s_waitcnt lgkmcnt(26)
	v_mul_f64 v[100:101], v[110:111], v[132:133]
	v_fma_f64 v[146:147], v[108:109], v[130:131], -v[100:101]
	v_mul_f64 v[100:101], v[108:109], v[132:133]
	v_fma_f64 v[148:149], v[110:111], v[130:131], v[100:101]
	s_waitcnt lgkmcnt(25)
	v_mul_f64 v[100:101], v[114:115], v[128:129]
	v_fma_f64 v[158:159], v[112:113], v[126:127], -v[100:101]
	v_mul_f64 v[100:101], v[112:113], v[128:129]
	;; [unrolled: 5-line block ×3, first 2 shown]
	v_fma_f64 v[152:153], v[118:119], v[102:103], v[100:101]
	v_mul_lo_u16 v100, 0xb7, v168
	v_lshrrev_b16 v191, 14, v100
	v_mul_lo_u16 v100, 0x5a, v191
	v_sub_nc_u16 v100, v164, v100
	v_and_b32_e32 v196, 0xff, v100
	v_mad_u64_u32 v[100:101], null, 0x50, v196, s[10:11]
	s_clause 0x3
	global_load_dwordx4 v[104:107], v[100:101], off offset:1440
	global_load_dwordx4 v[108:111], v[100:101], off offset:1424
	global_load_dwordx4 v[112:115], v[100:101], off offset:1408
	global_load_dwordx4 v[116:119], v[100:101], off offset:1392
	s_waitcnt vmcnt(0) lgkmcnt(22)
	v_mul_f64 v[102:103], v[98:99], v[118:119]
	v_fma_f64 v[126:127], v[96:97], v[116:117], -v[102:103]
	buffer_store_dword v116, off, s[28:31], 0 offset:1212 ; 4-byte Folded Spill
	buffer_store_dword v117, off, s[28:31], 0 offset:1216 ; 4-byte Folded Spill
	;; [unrolled: 1-line block ×16, first 2 shown]
	v_mul_f64 v[96:97], v[96:97], v[118:119]
	v_fma_f64 v[122:123], v[98:99], v[116:117], v[96:97]
	s_waitcnt lgkmcnt(21)
	v_mul_f64 v[96:97], v[94:95], v[114:115]
	v_fma_f64 v[130:131], v[92:93], v[112:113], -v[96:97]
	v_mul_f64 v[92:93], v[92:93], v[114:115]
	v_fma_f64 v[134:135], v[94:95], v[112:113], v[92:93]
	s_waitcnt lgkmcnt(20)
	v_mul_f64 v[92:93], v[90:91], v[110:111]
	v_fma_f64 v[124:125], v[88:89], v[108:109], -v[92:93]
	;; [unrolled: 5-line block ×3, first 2 shown]
	v_mul_f64 v[84:85], v[84:85], v[106:107]
	v_fma_f64 v[142:143], v[86:87], v[104:105], v[84:85]
	global_load_dwordx4 v[86:89], v[100:101], off offset:1456
	v_mov_b32_e32 v100, 0x2d83
	s_waitcnt vmcnt(0) lgkmcnt(18)
	v_mul_f64 v[84:85], v[82:83], v[88:89]
	v_fma_f64 v[132:133], v[80:81], v[86:87], -v[84:85]
	buffer_store_dword v86, off, s[28:31], 0 offset:1280 ; 4-byte Folded Spill
	buffer_store_dword v87, off, s[28:31], 0 offset:1284 ; 4-byte Folded Spill
	;; [unrolled: 1-line block ×4, first 2 shown]
	v_mul_f64 v[80:81], v[80:81], v[88:89]
	v_fma_f64 v[136:137], v[82:83], v[86:87], v[80:81]
	v_mul_u32_u24_sdwa v80, v165, v100 dst_sel:DWORD dst_unused:UNUSED_PAD src0_sel:WORD_0 src1_sel:DWORD
	v_lshrrev_b32_e32 v197, 20, v80
	v_mul_lo_u16 v80, 0x5a, v197
	v_sub_nc_u16 v198, v165, v80
	v_mul_lo_u16 v80, 0x50, v198
	v_and_b32_e32 v80, 0xffff, v80
	v_add_co_u32 v80, s26, s10, v80
	v_add_co_ci_u32_e64 v81, null, s11, 0, s26
	s_clause 0x3
	global_load_dwordx4 v[84:87], v[80:81], off offset:1440
	global_load_dwordx4 v[88:91], v[80:81], off offset:1424
	global_load_dwordx4 v[92:95], v[80:81], off offset:1408
	global_load_dwordx4 v[96:99], v[80:81], off offset:1392
	s_waitcnt vmcnt(0)
	buffer_store_dword v96, off, s[28:31], 0 offset:1392 ; 4-byte Folded Spill
	buffer_store_dword v97, off, s[28:31], 0 offset:1396 ; 4-byte Folded Spill
	;; [unrolled: 1-line block ×16, first 2 shown]
	s_waitcnt lgkmcnt(16)
	v_mul_f64 v[82:83], v[78:79], v[98:99]
	v_fma_f64 v[186:187], v[76:77], v[96:97], -v[82:83]
	global_load_dwordx4 v[80:83], v[80:81], off offset:1456
	s_waitcnt vmcnt(0)
	buffer_store_dword v80, off, s[28:31], 0 offset:1456 ; 4-byte Folded Spill
	buffer_store_dword v81, off, s[28:31], 0 offset:1460 ; 4-byte Folded Spill
	;; [unrolled: 1-line block ×4, first 2 shown]
	v_mul_f64 v[76:77], v[76:77], v[98:99]
	v_fma_f64 v[76:77], v[78:79], v[96:97], v[76:77]
	s_waitcnt lgkmcnt(15)
	v_mul_f64 v[78:79], v[74:75], v[94:95]
	v_fma_f64 v[78:79], v[72:73], v[92:93], -v[78:79]
	v_mul_f64 v[72:73], v[72:73], v[94:95]
	v_fma_f64 v[74:75], v[74:75], v[92:93], v[72:73]
	s_waitcnt lgkmcnt(14)
	v_mul_f64 v[72:73], v[70:71], v[90:91]
	v_fma_f64 v[72:73], v[68:69], v[88:89], -v[72:73]
	;; [unrolled: 5-line block ×4, first 2 shown]
	v_mul_f64 v[60:61], v[60:61], v[82:83]
	v_fma_f64 v[60:61], v[62:63], v[80:81], v[60:61]
	v_mul_u32_u24_sdwa v62, v166, v100 dst_sel:DWORD dst_unused:UNUSED_PAD src0_sel:WORD_0 src1_sel:DWORD
	v_lshrrev_b32_e32 v199, 20, v62
	v_mul_lo_u16 v62, 0x5a, v199
	v_sub_nc_u16 v212, v166, v62
	v_mul_lo_u16 v62, 0x50, v212
	v_and_b32_e32 v62, 0xffff, v62
	v_add_co_u32 v62, s26, s10, v62
	v_add_co_ci_u32_e64 v63, null, s11, 0, s26
	s_clause 0x3
	global_load_dwordx4 v[94:97], v[62:63], off offset:1440
	global_load_dwordx4 v[101:104], v[62:63], off offset:1424
	;; [unrolled: 1-line block ×4, first 2 shown]
	s_waitcnt vmcnt(0) lgkmcnt(10)
	v_mul_f64 v[80:81], v[58:59], v[92:93]
	v_fma_f64 v[84:85], v[56:57], v[90:91], -v[80:81]
	buffer_store_dword v90, off, s[28:31], 0 offset:1524 ; 4-byte Folded Spill
	buffer_store_dword v91, off, s[28:31], 0 offset:1528 ; 4-byte Folded Spill
	;; [unrolled: 1-line block ×4, first 2 shown]
	v_mul_f64 v[56:57], v[56:57], v[92:93]
	v_fma_f64 v[80:81], v[58:59], v[90:91], v[56:57]
	v_mov_b32_e32 v93, v89
	v_mov_b32_e32 v92, v88
	;; [unrolled: 1-line block ×4, first 2 shown]
	buffer_store_dword v90, off, s[28:31], 0 offset:1556 ; 4-byte Folded Spill
	buffer_store_dword v91, off, s[28:31], 0 offset:1560 ; 4-byte Folded Spill
	;; [unrolled: 1-line block ×8, first 2 shown]
	s_waitcnt lgkmcnt(9)
	v_mul_f64 v[56:57], v[54:55], v[92:93]
	v_fma_f64 v[88:89], v[52:53], v[90:91], -v[56:57]
	v_mul_f64 v[52:53], v[52:53], v[92:93]
	v_fma_f64 v[92:93], v[54:55], v[90:91], v[52:53]
	s_waitcnt lgkmcnt(8)
	v_mul_f64 v[52:53], v[50:51], v[103:104]
	v_fma_f64 v[82:83], v[48:49], v[101:102], -v[52:53]
	v_mul_f64 v[48:49], v[48:49], v[103:104]
	v_fma_f64 v[86:87], v[50:51], v[101:102], v[48:49]
	v_mov_b32_e32 v50, v94
	v_mov_b32_e32 v51, v95
	;; [unrolled: 1-line block ×4, first 2 shown]
	buffer_store_dword v50, off, s[28:31], 0 offset:1540 ; 4-byte Folded Spill
	buffer_store_dword v51, off, s[28:31], 0 offset:1544 ; 4-byte Folded Spill
	buffer_store_dword v52, off, s[28:31], 0 offset:1548 ; 4-byte Folded Spill
	buffer_store_dword v53, off, s[28:31], 0 offset:1552 ; 4-byte Folded Spill
	s_waitcnt lgkmcnt(7)
	v_mul_f64 v[48:49], v[46:47], v[52:53]
	v_fma_f64 v[96:97], v[44:45], v[50:51], -v[48:49]
	v_mul_f64 v[44:45], v[44:45], v[52:53]
	v_fma_f64 v[98:99], v[46:47], v[50:51], v[44:45]
	global_load_dwordx4 v[46:49], v[62:63], off offset:1456
	s_waitcnt vmcnt(0) lgkmcnt(6)
	v_mul_f64 v[44:45], v[42:43], v[48:49]
	v_fma_f64 v[90:91], v[40:41], v[46:47], -v[44:45]
	buffer_store_dword v46, off, s[28:31], 0 offset:1588 ; 4-byte Folded Spill
	buffer_store_dword v47, off, s[28:31], 0 offset:1592 ; 4-byte Folded Spill
	buffer_store_dword v48, off, s[28:31], 0 offset:1596 ; 4-byte Folded Spill
	buffer_store_dword v49, off, s[28:31], 0 offset:1600 ; 4-byte Folded Spill
	v_mul_f64 v[40:41], v[40:41], v[48:49]
	v_fma_f64 v[94:95], v[42:43], v[46:47], v[40:41]
	v_mul_u32_u24_sdwa v40, v167, v100 dst_sel:DWORD dst_unused:UNUSED_PAD src0_sel:WORD_0 src1_sel:DWORD
	v_lshrrev_b32_e32 v213, 20, v40
	v_mul_lo_u16 v40, 0x5a, v213
	v_sub_nc_u16 v214, v167, v40
	v_mul_lo_u16 v40, 0x50, v214
	v_and_b32_e32 v40, 0xffff, v40
	v_add_co_u32 v40, s26, s10, v40
	v_add_co_ci_u32_e64 v41, null, s11, 0, s26
	s_clause 0x3
	global_load_dwordx4 v[44:47], v[40:41], off offset:1440
	global_load_dwordx4 v[176:179], v[40:41], off offset:1424
	;; [unrolled: 1-line block ×4, first 2 shown]
	s_waitcnt vmcnt(3)
	buffer_store_dword v44, off, s[28:31], 0 offset:1636 ; 4-byte Folded Spill
	buffer_store_dword v45, off, s[28:31], 0 offset:1640 ; 4-byte Folded Spill
	;; [unrolled: 1-line block ×4, first 2 shown]
	global_load_dwordx4 v[164:167], v[40:41], off offset:1456
	s_waitcnt vmcnt(0) lgkmcnt(0)
	s_waitcnt_vscnt null, 0x0
	v_mul_f64 v[42:43], v[34:35], v[170:171]
	s_barrier
	buffer_gl0_inv
	v_fma_f64 v[106:107], v[32:33], v[168:169], -v[42:43]
	v_mul_f64 v[32:33], v[32:33], v[170:171]
	v_fma_f64 v[100:101], v[34:35], v[168:169], v[32:33]
	v_mul_f64 v[32:33], v[30:31], v[174:175]
	v_fma_f64 v[112:113], v[28:29], v[172:173], -v[32:33]
	v_mul_f64 v[28:29], v[28:29], v[174:175]
	v_fma_f64 v[114:115], v[30:31], v[172:173], v[28:29]
	v_mul_f64 v[28:29], v[26:27], v[178:179]
	;; [unrolled: 4-line block ×4, first 2 shown]
	v_fma_f64 v[108:109], v[16:17], v[164:165], -v[20:21]
	v_mul_f64 v[16:17], v[16:17], v[166:167]
	v_fma_f64 v[110:111], v[18:19], v[164:165], v[16:17]
	v_add_f64 v[16:17], v[12:13], v[154:155]
	v_add_f64 v[24:25], v[16:17], v[158:159]
	;; [unrolled: 1-line block ×3, first 2 shown]
	v_fma_f64 v[12:13], v[16:17], -0.5, v[12:13]
	v_add_f64 v[16:17], v[156:157], -v[184:185]
	v_fma_f64 v[26:27], v[16:17], s[2:3], v[12:13]
	v_fma_f64 v[30:31], v[16:17], s[4:5], v[12:13]
	v_add_f64 v[12:13], v[14:15], v[156:157]
	v_add_f64 v[16:17], v[146:147], -v[150:151]
	v_add_f64 v[34:35], v[12:13], v[184:185]
	v_add_f64 v[12:13], v[156:157], v[184:185]
	v_fma_f64 v[12:13], v[12:13], -0.5, v[14:15]
	v_add_f64 v[14:15], v[154:155], -v[158:159]
	v_fma_f64 v[40:41], v[14:15], s[4:5], v[12:13]
	v_fma_f64 v[42:43], v[14:15], s[2:3], v[12:13]
	v_add_f64 v[12:13], v[144:145], v[146:147]
	v_add_f64 v[14:15], v[148:149], -v[152:153]
	v_add_f64 v[28:29], v[12:13], v[150:151]
	v_add_f64 v[12:13], v[146:147], v[150:151]
	;; [unrolled: 1-line block ×3, first 2 shown]
	v_fma_f64 v[12:13], v[12:13], -0.5, v[144:145]
	v_fma_f64 v[18:19], v[14:15], s[2:3], v[12:13]
	v_fma_f64 v[14:15], v[14:15], s[4:5], v[12:13]
	v_add_f64 v[12:13], v[138:139], v[148:149]
	v_add_f64 v[44:45], v[12:13], v[152:153]
	v_add_f64 v[12:13], v[148:149], v[152:153]
	v_add_f64 v[22:23], v[34:35], v[44:45]
	v_fma_f64 v[12:13], v[12:13], -0.5, v[138:139]
	v_add_f64 v[34:35], v[34:35], -v[44:45]
	v_fma_f64 v[32:33], v[16:17], s[4:5], v[12:13]
	v_fma_f64 v[46:47], v[16:17], s[2:3], v[12:13]
	v_mul_f64 v[12:13], v[32:33], s[2:3]
	v_fma_f64 v[48:49], v[18:19], 0.5, v[12:13]
	v_mul_f64 v[12:13], v[14:15], -0.5
	v_mul_f64 v[18:19], v[18:19], s[4:5]
	v_add_f64 v[16:17], v[26:27], v[48:49]
	v_fma_f64 v[50:51], v[46:47], s[2:3], v[12:13]
	v_fma_f64 v[52:53], v[32:33], 0.5, v[18:19]
	v_mul_f64 v[32:33], v[46:47], -0.5
	v_add_f64 v[12:13], v[30:31], v[50:51]
	v_add_f64 v[18:19], v[40:41], v[52:53]
	v_fma_f64 v[46:47], v[14:15], s[4:5], v[32:33]
	v_add_f64 v[32:33], v[24:25], -v[28:29]
	v_add_f64 v[24:25], v[30:31], -v[50:51]
	;; [unrolled: 1-line block ×3, first 2 shown]
	v_add_f64 v[40:41], v[36:37], v[130:131]
	v_add_f64 v[28:29], v[26:27], -v[48:49]
	v_add_f64 v[14:15], v[42:43], v[46:47]
	v_add_f64 v[26:27], v[42:43], -v[46:47]
	v_add_f64 v[48:49], v[40:41], v[140:141]
	v_add_f64 v[40:41], v[130:131], v[140:141]
	v_fma_f64 v[36:37], v[40:41], -0.5, v[36:37]
	v_add_f64 v[40:41], v[134:135], -v[142:143]
	v_fma_f64 v[50:51], v[40:41], s[2:3], v[36:37]
	v_fma_f64 v[54:55], v[40:41], s[4:5], v[36:37]
	v_add_f64 v[36:37], v[38:39], v[134:135]
	v_add_f64 v[40:41], v[124:125], -v[132:133]
	v_add_f64 v[58:59], v[36:37], v[142:143]
	v_add_f64 v[36:37], v[134:135], v[142:143]
	v_fma_f64 v[36:37], v[36:37], -0.5, v[38:39]
	v_add_f64 v[38:39], v[130:131], -v[140:141]
	v_fma_f64 v[62:63], v[38:39], s[4:5], v[36:37]
	v_fma_f64 v[130:131], v[38:39], s[2:3], v[36:37]
	v_add_f64 v[36:37], v[126:127], v[124:125]
	v_add_f64 v[38:39], v[128:129], -v[136:137]
	v_add_f64 v[52:53], v[36:37], v[132:133]
	v_add_f64 v[36:37], v[124:125], v[132:133]
	;; [unrolled: 1-line block ×3, first 2 shown]
	v_fma_f64 v[36:37], v[36:37], -0.5, v[126:127]
	v_fma_f64 v[42:43], v[38:39], s[2:3], v[36:37]
	v_fma_f64 v[38:39], v[38:39], s[4:5], v[36:37]
	v_add_f64 v[36:37], v[122:123], v[128:129]
	v_add_f64 v[126:127], v[36:37], v[136:137]
	;; [unrolled: 1-line block ×4, first 2 shown]
	v_fma_f64 v[36:37], v[36:37], -0.5, v[122:123]
	v_add_f64 v[58:59], v[58:59], -v[126:127]
	v_fma_f64 v[56:57], v[40:41], s[4:5], v[36:37]
	v_fma_f64 v[122:123], v[40:41], s[2:3], v[36:37]
	v_mul_f64 v[36:37], v[56:57], s[2:3]
	v_fma_f64 v[124:125], v[42:43], 0.5, v[36:37]
	v_mul_f64 v[36:37], v[38:39], -0.5
	v_mul_f64 v[42:43], v[42:43], s[4:5]
	v_add_f64 v[40:41], v[50:51], v[124:125]
	v_fma_f64 v[128:129], v[122:123], s[2:3], v[36:37]
	v_fma_f64 v[132:133], v[56:57], 0.5, v[42:43]
	v_mul_f64 v[56:57], v[122:123], -0.5
	v_add_f64 v[36:37], v[54:55], v[128:129]
	v_add_f64 v[42:43], v[62:63], v[132:133]
	v_fma_f64 v[122:123], v[38:39], s[4:5], v[56:57]
	v_add_f64 v[56:57], v[48:49], -v[52:53]
	v_add_f64 v[48:49], v[54:55], -v[128:129]
	v_add_f64 v[54:55], v[62:63], -v[132:133]
	v_add_f64 v[62:63], v[8:9], v[78:79]
	v_add_f64 v[52:53], v[50:51], -v[124:125]
	v_add_f64 v[38:39], v[130:131], v[122:123]
	v_add_f64 v[50:51], v[130:131], -v[122:123]
	v_add_f64 v[122:123], v[62:63], v[70:71]
	v_add_f64 v[62:63], v[78:79], v[70:71]
	v_fma_f64 v[8:9], v[62:63], -0.5, v[8:9]
	v_add_f64 v[62:63], v[74:75], -v[66:67]
	v_fma_f64 v[124:125], v[62:63], s[2:3], v[8:9]
	v_fma_f64 v[126:127], v[62:63], s[4:5], v[8:9]
	v_add_f64 v[8:9], v[10:11], v[74:75]
	v_add_f64 v[128:129], v[8:9], v[66:67]
	;; [unrolled: 1-line block ×3, first 2 shown]
	v_fma_f64 v[8:9], v[8:9], -0.5, v[10:11]
	v_add_f64 v[10:11], v[78:79], -v[70:71]
	v_fma_f64 v[70:71], v[10:11], s[4:5], v[8:9]
	v_fma_f64 v[130:131], v[10:11], s[2:3], v[8:9]
	v_add_f64 v[8:9], v[186:187], v[72:73]
	v_add_f64 v[10:11], v[68:69], -v[60:61]
	v_add_f64 v[74:75], v[8:9], v[64:65]
	v_add_f64 v[8:9], v[72:73], v[64:65]
	v_fma_f64 v[8:9], v[8:9], -0.5, v[186:187]
	v_fma_f64 v[62:63], v[10:11], s[2:3], v[8:9]
	v_fma_f64 v[10:11], v[10:11], s[4:5], v[8:9]
	v_add_f64 v[8:9], v[76:77], v[68:69]
	v_add_f64 v[78:79], v[8:9], v[60:61]
	;; [unrolled: 1-line block ×3, first 2 shown]
	v_add_f64 v[60:61], v[72:73], -v[64:65]
	v_add_f64 v[64:65], v[122:123], v[74:75]
	v_add_f64 v[66:67], v[128:129], v[78:79]
	v_fma_f64 v[8:9], v[8:9], -0.5, v[76:77]
	v_add_f64 v[76:77], v[122:123], -v[74:75]
	v_add_f64 v[122:123], v[4:5], v[88:89]
	v_add_f64 v[78:79], v[128:129], -v[78:79]
	v_fma_f64 v[68:69], v[60:61], s[4:5], v[8:9]
	v_fma_f64 v[72:73], v[60:61], s[2:3], v[8:9]
	v_add_f64 v[122:123], v[122:123], v[96:97]
	v_mul_f64 v[8:9], v[68:69], s[2:3]
	v_fma_f64 v[132:133], v[62:63], 0.5, v[8:9]
	v_mul_f64 v[8:9], v[10:11], -0.5
	v_mul_f64 v[62:63], v[62:63], s[4:5]
	v_add_f64 v[60:61], v[124:125], v[132:133]
	v_fma_f64 v[134:135], v[72:73], s[2:3], v[8:9]
	v_fma_f64 v[136:137], v[68:69], 0.5, v[62:63]
	v_mul_f64 v[68:69], v[72:73], -0.5
	v_add_f64 v[72:73], v[124:125], -v[132:133]
	v_add_f64 v[124:125], v[88:89], v[96:97]
	v_add_f64 v[8:9], v[126:127], v[134:135]
	;; [unrolled: 1-line block ×3, first 2 shown]
	v_fma_f64 v[138:139], v[10:11], s[4:5], v[68:69]
	v_add_f64 v[68:69], v[126:127], -v[134:135]
	v_fma_f64 v[4:5], v[124:125], -0.5, v[4:5]
	v_add_f64 v[124:125], v[92:93], -v[98:99]
	v_add_f64 v[74:75], v[70:71], -v[136:137]
	v_add_f64 v[10:11], v[130:131], v[138:139]
	v_add_f64 v[70:71], v[130:131], -v[138:139]
	v_fma_f64 v[126:127], v[124:125], s[2:3], v[4:5]
	v_fma_f64 v[124:125], v[124:125], s[4:5], v[4:5]
	v_add_f64 v[4:5], v[6:7], v[92:93]
	v_add_f64 v[128:129], v[4:5], v[98:99]
	;; [unrolled: 1-line block ×3, first 2 shown]
	v_fma_f64 v[4:5], v[4:5], -0.5, v[6:7]
	v_add_f64 v[6:7], v[88:89], -v[96:97]
	v_fma_f64 v[130:131], v[6:7], s[4:5], v[4:5]
	v_fma_f64 v[132:133], v[6:7], s[2:3], v[4:5]
	v_add_f64 v[4:5], v[84:85], v[82:83]
	v_add_f64 v[6:7], v[86:87], -v[94:95]
	v_add_f64 v[88:89], v[4:5], v[90:91]
	v_add_f64 v[4:5], v[82:83], v[90:91]
	v_add_f64 v[96:97], v[122:123], -v[88:89]
	v_fma_f64 v[4:5], v[4:5], -0.5, v[84:85]
	v_add_f64 v[84:85], v[122:123], v[88:89]
	v_add_f64 v[122:123], v[0:1], v[112:113]
	v_fma_f64 v[92:93], v[6:7], s[2:3], v[4:5]
	v_fma_f64 v[6:7], v[6:7], s[4:5], v[4:5]
	v_add_f64 v[4:5], v[80:81], v[86:87]
	v_add_f64 v[122:123], v[122:123], v[116:117]
	;; [unrolled: 1-line block ×5, first 2 shown]
	v_fma_f64 v[4:5], v[4:5], -0.5, v[80:81]
	v_add_f64 v[80:81], v[82:83], -v[90:91]
	v_add_f64 v[98:99], v[128:129], -v[98:99]
	v_fma_f64 v[82:83], v[80:81], s[4:5], v[4:5]
	v_fma_f64 v[90:91], v[80:81], s[2:3], v[4:5]
	v_mul_f64 v[4:5], v[82:83], s[2:3]
	v_fma_f64 v[94:95], v[92:93], 0.5, v[4:5]
	v_mul_f64 v[4:5], v[6:7], -0.5
	v_mul_f64 v[92:93], v[92:93], s[4:5]
	v_add_f64 v[80:81], v[126:127], v[94:95]
	v_fma_f64 v[134:135], v[90:91], s[2:3], v[4:5]
	v_fma_f64 v[136:137], v[82:83], 0.5, v[92:93]
	v_add_f64 v[92:93], v[126:127], -v[94:95]
	v_mul_f64 v[90:91], v[90:91], -0.5
	v_add_f64 v[4:5], v[124:125], v[134:135]
	v_add_f64 v[88:89], v[124:125], -v[134:135]
	v_add_f64 v[124:125], v[112:113], v[116:117]
	v_add_f64 v[82:83], v[130:131], v[136:137]
	v_add_f64 v[94:95], v[130:131], -v[136:137]
	v_fma_f64 v[90:91], v[6:7], s[4:5], v[90:91]
	v_fma_f64 v[0:1], v[124:125], -0.5, v[0:1]
	v_add_f64 v[124:125], v[114:115], -v[118:119]
	v_add_f64 v[6:7], v[132:133], v[90:91]
	v_add_f64 v[90:91], v[132:133], -v[90:91]
	v_fma_f64 v[126:127], v[124:125], s[2:3], v[0:1]
	v_fma_f64 v[124:125], v[124:125], s[4:5], v[0:1]
	v_add_f64 v[0:1], v[2:3], v[114:115]
	v_add_f64 v[128:129], v[0:1], v[118:119]
	;; [unrolled: 1-line block ×3, first 2 shown]
	v_fma_f64 v[0:1], v[0:1], -0.5, v[2:3]
	v_add_f64 v[2:3], v[112:113], -v[116:117]
	v_fma_f64 v[114:115], v[2:3], s[4:5], v[0:1]
	v_fma_f64 v[118:119], v[2:3], s[2:3], v[0:1]
	v_add_f64 v[0:1], v[106:107], v[102:103]
	v_add_f64 v[2:3], v[104:105], -v[110:111]
	v_add_f64 v[112:113], v[0:1], v[108:109]
	v_add_f64 v[0:1], v[102:103], v[108:109]
	v_fma_f64 v[0:1], v[0:1], -0.5, v[106:107]
	v_fma_f64 v[106:107], v[2:3], s[2:3], v[0:1]
	v_fma_f64 v[116:117], v[2:3], s[4:5], v[0:1]
	v_add_f64 v[0:1], v[100:101], v[104:105]
	v_add_f64 v[2:3], v[102:103], -v[108:109]
	v_add_f64 v[130:131], v[0:1], v[110:111]
	v_add_f64 v[0:1], v[104:105], v[110:111]
	v_fma_f64 v[0:1], v[0:1], -0.5, v[100:101]
	v_fma_f64 v[102:103], v[2:3], s[4:5], v[0:1]
	v_fma_f64 v[108:109], v[2:3], s[2:3], v[0:1]
	v_add_f64 v[0:1], v[122:123], v[112:113]
	v_mul_f64 v[2:3], v[102:103], s[2:3]
	v_fma_f64 v[110:111], v[106:107], 0.5, v[2:3]
	v_mul_f64 v[106:107], v[106:107], s[4:5]
	v_mul_f64 v[2:3], v[116:117], -0.5
	v_add_f64 v[100:101], v[126:127], v[110:111]
	v_fma_f64 v[134:135], v[102:103], 0.5, v[106:107]
	v_mul_f64 v[106:107], v[108:109], -0.5
	v_fma_f64 v[132:133], v[108:109], s[2:3], v[2:3]
	v_add_f64 v[108:109], v[122:123], -v[112:113]
	v_cndmask_b32_e64 v122, 0, 0x21c, vcc_lo
	v_add_f64 v[2:3], v[128:129], v[130:131]
	v_add_f64 v[112:113], v[126:127], -v[110:111]
	v_add_f64 v[110:111], v[128:129], -v[130:131]
	v_add_lshl_u32 v122, v190, v122, 4
	buffer_store_dword v122, off, s[28:31], 0 offset:1772 ; 4-byte Folded Spill
	ds_write_b128 v122, v[20:23]
	ds_write_b128 v122, v[16:19] offset:1440
	ds_write_b128 v122, v[12:15] offset:2880
	;; [unrolled: 1-line block ×5, first 2 shown]
	v_mov_b32_e32 v12, 0x21c
	v_mul_u32_u24_sdwa v12, v191, v12 dst_sel:DWORD dst_unused:UNUSED_PAD src0_sel:WORD_0 src1_sel:DWORD
	v_add_f64 v[102:103], v[114:115], v[134:135]
	v_fma_f64 v[136:137], v[116:117], s[4:5], v[106:107]
	v_add_f64 v[104:105], v[124:125], v[132:133]
	v_add_f64 v[114:115], v[114:115], -v[134:135]
	v_add_lshl_u32 v12, v12, v196, 4
	v_add_f64 v[116:117], v[124:125], -v[132:133]
	buffer_store_dword v12, off, s[28:31], 0 offset:1768 ; 4-byte Folded Spill
	ds_write_b128 v12, v[44:47]
	ds_write_b128 v12, v[40:43] offset:1440
	ds_write_b128 v12, v[36:39] offset:2880
	ds_write_b128 v12, v[56:59] offset:4320
	ds_write_b128 v12, v[52:55] offset:5760
	ds_write_b128 v12, v[48:51] offset:7200
	v_mad_u16 v12, 0x21c, v197, v198
	v_lshlrev_b32_sdwa v12, v189, v12 dst_sel:DWORD dst_unused:UNUSED_PAD src0_sel:DWORD src1_sel:WORD_0
	buffer_store_dword v12, off, s[28:31], 0 offset:1764 ; 4-byte Folded Spill
	ds_write_b128 v12, v[64:67]
	ds_write_b128 v12, v[60:63] offset:1440
	ds_write_b128 v12, v[8:11] offset:2880
	;; [unrolled: 1-line block ×5, first 2 shown]
	v_add_f64 v[106:107], v[118:119], v[136:137]
	v_mad_u16 v8, 0x21c, v199, v212
	v_add_f64 v[118:119], v[118:119], -v[136:137]
	v_lshlrev_b32_sdwa v8, v189, v8 dst_sel:DWORD dst_unused:UNUSED_PAD src0_sel:DWORD src1_sel:WORD_0
	buffer_store_dword v8, off, s[28:31], 0 offset:1520 ; 4-byte Folded Spill
	ds_write_b128 v8, v[84:87]
	ds_write_b128 v8, v[80:83] offset:1440
	ds_write_b128 v8, v[4:7] offset:2880
	;; [unrolled: 1-line block ×5, first 2 shown]
	v_mad_u16 v4, 0x21c, v213, v214
	v_lshlrev_b32_sdwa v4, v189, v4 dst_sel:DWORD dst_unused:UNUSED_PAD src0_sel:DWORD src1_sel:WORD_0
	buffer_store_dword v4, off, s[28:31], 0 offset:1276 ; 4-byte Folded Spill
	ds_write_b128 v4, v[0:3]
	ds_write_b128 v4, v[100:103] offset:1440
	ds_write_b128 v4, v[104:107] offset:2880
	;; [unrolled: 1-line block ×5, first 2 shown]
	v_mad_u64_u32 v[104:105], null, 0x50, v215, s[10:11]
	s_waitcnt lgkmcnt(0)
	s_waitcnt_vscnt null, 0x0
	s_barrier
	buffer_gl0_inv
	ds_read_b128 v[16:19], v120
	ds_read_b128 v[0:3], v120 offset:8640
	ds_read_b128 v[4:7], v120 offset:17280
	ds_read_b128 v[106:109], v120 offset:25920
	ds_read_b128 v[116:119], v120 offset:34560
	ds_read_b128 v[122:125], v120 offset:43200
	ds_read_b128 v[12:15], v120 offset:1728
	ds_read_b128 v[96:99], v120 offset:10368
	ds_read_b128 v[92:95], v120 offset:19008
	ds_read_b128 v[88:91], v120 offset:27648
	ds_read_b128 v[84:87], v120 offset:36288
	ds_read_b128 v[80:83], v120 offset:44928
	ds_read_b128 v[8:11], v120 offset:3456
	ds_read_b128 v[76:79], v120 offset:12096
	ds_read_b128 v[72:75], v120 offset:20736
	ds_read_b128 v[68:71], v120 offset:29376
	ds_read_b128 v[64:67], v120 offset:38016
	ds_read_b128 v[60:63], v120 offset:46656
	ds_read_b128 v[112:115], v120 offset:5184
	ds_read_b128 v[56:59], v120 offset:13824
	ds_read_b128 v[52:55], v120 offset:22464
	ds_read_b128 v[48:51], v120 offset:31104
	ds_read_b128 v[44:47], v120 offset:39744
	ds_read_b128 v[40:43], v120 offset:48384
	ds_read_b128 v[100:103], v120 offset:6912
	ds_read_b128 v[36:39], v120 offset:15552
	ds_read_b128 v[32:35], v120 offset:24192
	ds_read_b128 v[28:31], v120 offset:32832
	ds_read_b128 v[24:27], v120 offset:41472
	ds_read_b128 v[20:23], v120 offset:50112
	v_add_co_u32 v110, vcc_lo, 0x2190, v104
	v_add_co_ci_u32_e32 v111, vcc_lo, 0, v105, vcc_lo
	v_add_co_u32 v126, vcc_lo, 0x2000, v104
	v_add_co_ci_u32_e32 v127, vcc_lo, 0, v105, vcc_lo
	s_clause 0x3
	global_load_dwordx4 v[144:147], v[126:127], off offset:400
	global_load_dwordx4 v[136:139], v[110:111], off offset:48
	;; [unrolled: 1-line block ×4, first 2 shown]
	s_waitcnt vmcnt(3)
	buffer_store_dword v144, off, s[28:31], 0 offset:1360 ; 4-byte Folded Spill
	buffer_store_dword v145, off, s[28:31], 0 offset:1364 ; 4-byte Folded Spill
	;; [unrolled: 1-line block ×4, first 2 shown]
	s_waitcnt vmcnt(0)
	buffer_store_dword v140, off, s[28:31], 0 offset:1408 ; 4-byte Folded Spill
	buffer_store_dword v141, off, s[28:31], 0 offset:1412 ; 4-byte Folded Spill
	;; [unrolled: 1-line block ×4, first 2 shown]
	s_waitcnt lgkmcnt(28)
	v_mul_f64 v[110:111], v[2:3], v[146:147]
	v_fma_f64 v[130:131], v[0:1], v[144:145], -v[110:111]
	v_mul_f64 v[0:1], v[0:1], v[146:147]
	v_fma_f64 v[128:129], v[2:3], v[144:145], v[0:1]
	s_waitcnt lgkmcnt(27)
	v_mul_f64 v[0:1], v[6:7], v[142:143]
	v_fma_f64 v[150:151], v[4:5], v[140:141], -v[0:1]
	v_mul_f64 v[0:1], v[4:5], v[142:143]
	v_fma_f64 v[2:3], v[6:7], v[140:141], v[0:1]
	v_mov_b32_e32 v4, v132
	v_mov_b32_e32 v5, v133
	;; [unrolled: 1-line block ×4, first 2 shown]
	buffer_store_dword v4, off, s[28:31], 0 offset:1344 ; 4-byte Folded Spill
	buffer_store_dword v5, off, s[28:31], 0 offset:1348 ; 4-byte Folded Spill
	buffer_store_dword v6, off, s[28:31], 0 offset:1352 ; 4-byte Folded Spill
	buffer_store_dword v7, off, s[28:31], 0 offset:1356 ; 4-byte Folded Spill
	buffer_store_dword v136, off, s[28:31], 0 offset:1312 ; 4-byte Folded Spill
	buffer_store_dword v137, off, s[28:31], 0 offset:1316 ; 4-byte Folded Spill
	buffer_store_dword v138, off, s[28:31], 0 offset:1320 ; 4-byte Folded Spill
	buffer_store_dword v139, off, s[28:31], 0 offset:1324 ; 4-byte Folded Spill
	s_waitcnt lgkmcnt(26)
	v_mul_f64 v[0:1], v[108:109], v[6:7]
	v_fma_f64 v[132:133], v[106:107], v[4:5], -v[0:1]
	v_mul_f64 v[0:1], v[106:107], v[6:7]
	v_fma_f64 v[134:135], v[108:109], v[4:5], v[0:1]
	global_load_dwordx4 v[106:109], v[126:127], off offset:464
	s_waitcnt vmcnt(0)
	buffer_store_dword v106, off, s[28:31], 0 offset:1296 ; 4-byte Folded Spill
	buffer_store_dword v107, off, s[28:31], 0 offset:1300 ; 4-byte Folded Spill
	buffer_store_dword v108, off, s[28:31], 0 offset:1304 ; 4-byte Folded Spill
	buffer_store_dword v109, off, s[28:31], 0 offset:1308 ; 4-byte Folded Spill
	s_waitcnt lgkmcnt(25)
	v_mul_f64 v[0:1], v[118:119], v[138:139]
	v_fma_f64 v[154:155], v[116:117], v[136:137], -v[0:1]
	v_mul_f64 v[0:1], v[116:117], v[138:139]
	v_fma_f64 v[0:1], v[118:119], v[136:137], v[0:1]
	s_waitcnt lgkmcnt(24)
	v_mul_f64 v[4:5], v[124:125], v[108:109]
	v_fma_f64 v[140:141], v[122:123], v[106:107], -v[4:5]
	v_mul_f64 v[4:5], v[122:123], v[108:109]
	v_fma_f64 v[142:143], v[124:125], v[106:107], v[4:5]
	v_add_co_u32 v4, vcc_lo, 0x4350, v104
	v_add_co_ci_u32_e32 v5, vcc_lo, 0, v105, vcc_lo
	v_add_co_u32 v6, vcc_lo, 0x4000, v104
	v_add_co_ci_u32_e32 v7, vcc_lo, 0, v105, vcc_lo
	global_load_dwordx4 v[122:125], v[6:7], off offset:848
	s_waitcnt vmcnt(0)
	buffer_store_dword v122, off, s[28:31], 0 offset:1504 ; 4-byte Folded Spill
	buffer_store_dword v123, off, s[28:31], 0 offset:1508 ; 4-byte Folded Spill
	;; [unrolled: 1-line block ×4, first 2 shown]
	global_load_dwordx4 v[106:109], v[4:5], off offset:48
	s_waitcnt vmcnt(0)
	buffer_store_dword v106, off, s[28:31], 0 offset:1328 ; 4-byte Folded Spill
	buffer_store_dword v107, off, s[28:31], 0 offset:1332 ; 4-byte Folded Spill
	;; [unrolled: 1-line block ×4, first 2 shown]
	s_clause 0x1
	global_load_dwordx4 v[116:119], v[4:5], off offset:32
	global_load_dwordx4 v[136:139], v[4:5], off offset:16
	s_waitcnt vmcnt(0)
	buffer_store_dword v136, off, s[28:31], 0 offset:1440 ; 4-byte Folded Spill
	buffer_store_dword v137, off, s[28:31], 0 offset:1444 ; 4-byte Folded Spill
	;; [unrolled: 1-line block ×4, first 2 shown]
	s_waitcnt lgkmcnt(22)
	v_mul_f64 v[4:5], v[98:99], v[124:125]
	buffer_store_dword v116, off, s[28:31], 0 offset:1376 ; 4-byte Folded Spill
	buffer_store_dword v117, off, s[28:31], 0 offset:1380 ; 4-byte Folded Spill
	;; [unrolled: 1-line block ×4, first 2 shown]
	v_fma_f64 v[126:127], v[96:97], v[122:123], -v[4:5]
	v_mul_f64 v[4:5], v[96:97], v[124:125]
	v_fma_f64 v[158:159], v[98:99], v[122:123], v[4:5]
	s_waitcnt lgkmcnt(21)
	v_mul_f64 v[4:5], v[94:95], v[138:139]
	v_fma_f64 v[98:99], v[92:93], v[136:137], -v[4:5]
	v_mul_f64 v[4:5], v[92:93], v[138:139]
	v_fma_f64 v[92:93], v[94:95], v[136:137], v[4:5]
	global_load_dwordx4 v[94:97], v[6:7], off offset:912
	s_waitcnt vmcnt(0)
	buffer_store_dword v94, off, s[28:31], 0 offset:1604 ; 4-byte Folded Spill
	buffer_store_dword v95, off, s[28:31], 0 offset:1608 ; 4-byte Folded Spill
	;; [unrolled: 1-line block ×4, first 2 shown]
	s_waitcnt lgkmcnt(20)
	v_mul_f64 v[4:5], v[90:91], v[118:119]
	v_add_co_u32 v6, vcc_lo, 0x6510, v104
	v_add_co_ci_u32_e32 v7, vcc_lo, 0, v105, vcc_lo
	v_fma_f64 v[122:123], v[88:89], v[116:117], -v[4:5]
	v_mul_f64 v[4:5], v[88:89], v[118:119]
	v_fma_f64 v[124:125], v[90:91], v[116:117], v[4:5]
	s_waitcnt lgkmcnt(19)
	v_mul_f64 v[4:5], v[86:87], v[108:109]
	v_fma_f64 v[88:89], v[84:85], v[106:107], -v[4:5]
	v_mul_f64 v[4:5], v[84:85], v[108:109]
	v_fma_f64 v[84:85], v[86:87], v[106:107], v[4:5]
	s_waitcnt lgkmcnt(18)
	v_mul_f64 v[4:5], v[82:83], v[96:97]
	v_fma_f64 v[144:145], v[80:81], v[94:95], -v[4:5]
	v_mul_f64 v[4:5], v[80:81], v[96:97]
	v_fma_f64 v[4:5], v[82:83], v[94:95], v[4:5]
	v_add_co_u32 v82, vcc_lo, 0x6000, v104
	v_add_co_ci_u32_e32 v83, vcc_lo, 0, v105, vcc_lo
	s_clause 0x3
	global_load_dwordx4 v[136:139], v[82:83], off offset:1296
	global_load_dwordx4 v[94:97], v[6:7], off offset:48
	;; [unrolled: 1-line block ×4, first 2 shown]
	s_waitcnt vmcnt(3)
	buffer_store_dword v136, off, s[28:31], 0 offset:1684 ; 4-byte Folded Spill
	buffer_store_dword v137, off, s[28:31], 0 offset:1688 ; 4-byte Folded Spill
	;; [unrolled: 1-line block ×4, first 2 shown]
	s_waitcnt vmcnt(0)
	buffer_store_dword v116, off, s[28:31], 0 offset:1716 ; 4-byte Folded Spill
	buffer_store_dword v117, off, s[28:31], 0 offset:1720 ; 4-byte Folded Spill
	;; [unrolled: 1-line block ×12, first 2 shown]
	s_waitcnt lgkmcnt(16)
	v_mul_f64 v[6:7], v[78:79], v[138:139]
	v_fma_f64 v[80:81], v[76:77], v[136:137], -v[6:7]
	v_mul_f64 v[6:7], v[76:77], v[138:139]
	v_fma_f64 v[76:77], v[78:79], v[136:137], v[6:7]
	s_waitcnt lgkmcnt(15)
	v_mul_f64 v[6:7], v[74:75], v[118:119]
	v_fma_f64 v[146:147], v[72:73], v[116:117], -v[6:7]
	v_mul_f64 v[6:7], v[72:73], v[118:119]
	s_waitcnt lgkmcnt(14)
	v_mul_f64 v[72:73], v[70:71], v[108:109]
	v_fma_f64 v[6:7], v[74:75], v[116:117], v[6:7]
	v_fma_f64 v[138:139], v[68:69], v[106:107], -v[72:73]
	global_load_dwordx4 v[72:75], v[82:83], off offset:1360
	s_waitcnt vmcnt(0)
	buffer_store_dword v72, off, s[28:31], 0 offset:1620 ; 4-byte Folded Spill
	buffer_store_dword v73, off, s[28:31], 0 offset:1624 ; 4-byte Folded Spill
	;; [unrolled: 1-line block ×4, first 2 shown]
	v_mul_f64 v[68:69], v[68:69], v[108:109]
	v_fma_f64 v[68:69], v[70:71], v[106:107], v[68:69]
	s_waitcnt lgkmcnt(13)
	v_mul_f64 v[70:71], v[66:67], v[96:97]
	v_fma_f64 v[70:71], v[64:65], v[94:95], -v[70:71]
	v_mul_f64 v[64:65], v[64:65], v[96:97]
	v_fma_f64 v[66:67], v[66:67], v[94:95], v[64:65]
	s_waitcnt lgkmcnt(12)
	v_mul_f64 v[64:65], v[62:63], v[74:75]
	v_fma_f64 v[64:65], v[60:61], v[72:73], -v[64:65]
	v_mul_f64 v[60:61], v[60:61], v[74:75]
	v_fma_f64 v[60:61], v[62:63], v[72:73], v[60:61]
	v_add_co_u32 v62, vcc_lo, 0x86d0, v104
	v_add_co_ci_u32_e32 v63, vcc_lo, 0, v105, vcc_lo
	v_add_co_u32 v94, vcc_lo, 0x8000, v104
	v_add_co_ci_u32_e32 v95, vcc_lo, 0, v105, vcc_lo
	s_clause 0x3
	global_load_dwordx4 v[116:119], v[94:95], off offset:1744
	global_load_dwordx4 v[72:75], v[62:63], off offset:48
	;; [unrolled: 1-line block ×4, first 2 shown]
	s_waitcnt vmcnt(3) lgkmcnt(10)
	v_mul_f64 v[62:63], v[58:59], v[118:119]
	v_fma_f64 v[136:137], v[56:57], v[116:117], -v[62:63]
	buffer_store_dword v116, off, s[28:31], 0 offset:1748 ; 4-byte Folded Spill
	buffer_store_dword v117, off, s[28:31], 0 offset:1752 ; 4-byte Folded Spill
	;; [unrolled: 1-line block ×4, first 2 shown]
	s_waitcnt vmcnt(1)
	buffer_store_dword v106, off, s[28:31], 0 offset:1732 ; 4-byte Folded Spill
	buffer_store_dword v107, off, s[28:31], 0 offset:1736 ; 4-byte Folded Spill
	buffer_store_dword v108, off, s[28:31], 0 offset:1740 ; 4-byte Folded Spill
	buffer_store_dword v109, off, s[28:31], 0 offset:1744 ; 4-byte Folded Spill
	v_mul_f64 v[56:57], v[56:57], v[118:119]
	v_fma_f64 v[148:149], v[58:59], v[116:117], v[56:57]
	s_waitcnt vmcnt(0) lgkmcnt(9)
	v_mul_f64 v[56:57], v[54:55], v[242:243]
	v_fma_f64 v[78:79], v[52:53], v[240:241], -v[56:57]
	v_mul_f64 v[52:53], v[52:53], v[242:243]
	v_fma_f64 v[90:91], v[54:55], v[240:241], v[52:53]
	s_waitcnt lgkmcnt(8)
	v_mul_f64 v[52:53], v[50:51], v[108:109]
	v_fma_f64 v[86:87], v[48:49], v[106:107], -v[52:53]
	v_mul_f64 v[48:49], v[48:49], v[108:109]
	v_fma_f64 v[82:83], v[50:51], v[106:107], v[48:49]
	v_mov_b32_e32 v50, v72
	v_mov_b32_e32 v51, v73
	;; [unrolled: 1-line block ×4, first 2 shown]
	buffer_store_dword v50, off, s[28:31], 0 offset:1668 ; 4-byte Folded Spill
	buffer_store_dword v51, off, s[28:31], 0 offset:1672 ; 4-byte Folded Spill
	;; [unrolled: 1-line block ×4, first 2 shown]
	global_load_dwordx4 v[224:227], v[94:95], off offset:1808
	s_waitcnt lgkmcnt(7)
	v_mul_f64 v[48:49], v[46:47], v[52:53]
	v_fma_f64 v[74:75], v[44:45], v[50:51], -v[48:49]
	v_mul_f64 v[44:45], v[44:45], v[52:53]
	v_fma_f64 v[72:73], v[46:47], v[50:51], v[44:45]
	s_waitcnt vmcnt(0) lgkmcnt(6)
	v_mul_f64 v[44:45], v[42:43], v[226:227]
	v_fma_f64 v[116:117], v[40:41], v[224:225], -v[44:45]
	v_mul_f64 v[40:41], v[40:41], v[226:227]
	v_fma_f64 v[118:119], v[42:43], v[224:225], v[40:41]
	v_add_co_u32 v40, vcc_lo, 0xa890, v104
	v_add_co_ci_u32_e32 v41, vcc_lo, 0, v105, vcc_lo
	v_add_co_u32 v42, vcc_lo, 0xa800, v104
	v_add_co_ci_u32_e32 v43, vcc_lo, 0, v105, vcc_lo
	s_clause 0x4
	global_load_dwordx4 v[188:191], v[42:43], off offset:144
	global_load_dwordx4 v[220:223], v[40:41], off offset:48
	;; [unrolled: 1-line block ×5, first 2 shown]
	s_waitcnt vmcnt(4) lgkmcnt(4)
	v_mul_f64 v[40:41], v[38:39], v[190:191]
	v_fma_f64 v[152:153], v[36:37], v[188:189], -v[40:41]
	v_mul_f64 v[36:37], v[36:37], v[190:191]
	v_fma_f64 v[156:157], v[38:39], v[188:189], v[36:37]
	s_waitcnt vmcnt(1) lgkmcnt(3)
	v_mul_f64 v[36:37], v[34:35], v[198:199]
	v_fma_f64 v[104:105], v[32:33], v[196:197], -v[36:37]
	v_mul_f64 v[32:33], v[32:33], v[198:199]
	v_add_f64 v[36:37], v[132:133], -v[140:141]
	v_fma_f64 v[106:107], v[34:35], v[196:197], v[32:33]
	s_waitcnt lgkmcnt(2)
	v_mul_f64 v[32:33], v[30:31], v[214:215]
	v_fma_f64 v[94:95], v[28:29], v[212:213], -v[32:33]
	v_mul_f64 v[28:29], v[28:29], v[214:215]
	v_add_f64 v[32:33], v[134:135], -v[142:143]
	v_fma_f64 v[96:97], v[30:31], v[212:213], v[28:29]
	s_waitcnt lgkmcnt(1)
	v_mul_f64 v[28:29], v[26:27], v[222:223]
	v_add_f64 v[30:31], v[132:133], v[140:141]
	v_fma_f64 v[108:109], v[24:25], v[220:221], -v[28:29]
	v_mul_f64 v[24:25], v[24:25], v[222:223]
	v_fma_f64 v[30:31], v[30:31], -0.5, v[130:131]
	v_fma_f64 v[110:111], v[26:27], v[220:221], v[24:25]
	s_waitcnt vmcnt(0) lgkmcnt(0)
	v_mul_f64 v[24:25], v[22:23], v[186:187]
	v_fma_f64 v[34:35], v[32:33], s[2:3], v[30:31]
	v_fma_f64 v[30:31], v[32:33], s[4:5], v[30:31]
	v_add_f64 v[32:33], v[128:129], v[134:135]
	v_fma_f64 v[26:27], v[20:21], v[184:185], -v[24:25]
	v_mul_f64 v[20:21], v[20:21], v[186:187]
	v_add_f64 v[38:39], v[32:33], v[142:143]
	v_add_f64 v[32:33], v[134:135], v[142:143]
	v_fma_f64 v[24:25], v[22:23], v[184:185], v[20:21]
	v_add_f64 v[22:23], v[150:151], v[154:155]
	v_add_f64 v[20:21], v[16:17], v[150:151]
	v_fma_f64 v[32:33], v[32:33], -0.5, v[128:129]
	v_fma_f64 v[16:17], v[22:23], -0.5, v[16:17]
	v_add_f64 v[22:23], v[2:3], -v[0:1]
	v_fma_f64 v[40:41], v[36:37], s[4:5], v[32:33]
	v_fma_f64 v[32:33], v[36:37], s[2:3], v[32:33]
	v_add_f64 v[20:21], v[20:21], v[154:155]
	v_fma_f64 v[28:29], v[22:23], s[2:3], v[16:17]
	v_fma_f64 v[16:17], v[22:23], s[4:5], v[16:17]
	v_add_f64 v[22:23], v[18:19], v[2:3]
	v_mul_f64 v[36:37], v[40:41], s[2:3]
	v_add_f64 v[22:23], v[22:23], v[0:1]
	v_add_f64 v[0:1], v[2:3], v[0:1]
	v_add_f64 v[2:3], v[150:151], -v[154:155]
	v_fma_f64 v[42:43], v[34:35], 0.5, v[36:37]
	v_mul_f64 v[36:37], v[30:31], -0.5
	v_mul_f64 v[34:35], v[34:35], s[4:5]
	v_fma_f64 v[0:1], v[0:1], -0.5, v[18:19]
	v_fma_f64 v[44:45], v[32:33], s[2:3], v[36:37]
	v_mul_f64 v[32:33], v[32:33], -0.5
	v_fma_f64 v[34:35], v[40:41], 0.5, v[34:35]
	v_fma_f64 v[18:19], v[2:3], s[4:5], v[0:1]
	v_fma_f64 v[0:1], v[2:3], s[2:3], v[0:1]
	v_add_f64 v[2:3], v[130:131], v[132:133]
	v_add_f64 v[130:131], v[22:23], v[38:39]
	v_add_f64 v[38:39], v[22:23], -v[38:39]
	v_add_f64 v[22:23], v[124:125], -v[4:5]
	v_add_f64 v[132:133], v[28:29], v[42:43]
	v_fma_f64 v[30:31], v[30:31], s[4:5], v[32:33]
	v_add_f64 v[32:33], v[28:29], -v[42:43]
	v_add_f64 v[28:29], v[16:17], -v[44:45]
	v_add_f64 v[134:135], v[18:19], v[34:35]
	v_add_f64 v[34:35], v[18:19], -v[34:35]
	v_add_f64 v[2:3], v[2:3], v[140:141]
	v_add_f64 v[18:19], v[92:93], v[84:85]
	;; [unrolled: 1-line block ×4, first 2 shown]
	v_add_f64 v[30:31], v[0:1], -v[30:31]
	v_add_f64 v[0:1], v[12:13], v[98:99]
	v_add_f64 v[128:129], v[20:21], v[2:3]
	v_add_f64 v[36:37], v[20:21], -v[2:3]
	v_add_f64 v[20:21], v[122:123], v[144:145]
	v_add_f64 v[2:3], v[98:99], v[88:89]
	;; [unrolled: 1-line block ×3, first 2 shown]
	v_fma_f64 v[20:21], v[20:21], -0.5, v[126:127]
	v_fma_f64 v[2:3], v[2:3], -0.5, v[12:13]
	v_add_f64 v[12:13], v[92:93], -v[84:85]
	v_fma_f64 v[42:43], v[22:23], s[2:3], v[20:21]
	v_fma_f64 v[22:23], v[22:23], s[4:5], v[20:21]
	v_add_f64 v[20:21], v[158:159], v[124:125]
	v_fma_f64 v[16:17], v[12:13], s[2:3], v[2:3]
	v_fma_f64 v[2:3], v[12:13], s[4:5], v[2:3]
	v_add_f64 v[12:13], v[14:15], v[92:93]
	v_fma_f64 v[14:15], v[18:19], -0.5, v[14:15]
	v_add_f64 v[18:19], v[98:99], -v[88:89]
	v_add_f64 v[54:55], v[20:21], v[4:5]
	v_add_f64 v[4:5], v[124:125], v[4:5]
	v_add_f64 v[20:21], v[122:123], -v[144:145]
	v_add_f64 v[12:13], v[12:13], v[84:85]
	v_fma_f64 v[50:51], v[18:19], s[4:5], v[14:15]
	v_fma_f64 v[14:15], v[18:19], s[2:3], v[14:15]
	v_add_f64 v[18:19], v[126:127], v[122:123]
	v_fma_f64 v[4:5], v[4:5], -0.5, v[158:159]
	v_add_f64 v[46:47], v[12:13], v[54:55]
	v_add_f64 v[18:19], v[18:19], v[144:145]
	v_fma_f64 v[48:49], v[20:21], s[4:5], v[4:5]
	v_fma_f64 v[4:5], v[20:21], s[2:3], v[4:5]
	v_add_f64 v[44:45], v[0:1], v[18:19]
	v_add_f64 v[56:57], v[0:1], -v[18:19]
	v_add_f64 v[0:1], v[8:9], v[146:147]
	v_mul_f64 v[20:21], v[48:49], s[2:3]
	v_add_f64 v[0:1], v[0:1], v[70:71]
	v_fma_f64 v[52:53], v[42:43], 0.5, v[20:21]
	v_mul_f64 v[20:21], v[22:23], -0.5
	v_mul_f64 v[42:43], v[42:43], s[4:5]
	v_add_f64 v[40:41], v[16:17], v[52:53]
	v_fma_f64 v[58:59], v[4:5], s[2:3], v[20:21]
	v_mul_f64 v[4:5], v[4:5], -0.5
	v_fma_f64 v[62:63], v[48:49], 0.5, v[42:43]
	v_add_f64 v[52:53], v[16:17], -v[52:53]
	v_add_f64 v[16:17], v[68:69], -v[60:61]
	v_add_f64 v[20:21], v[2:3], v[58:59]
	v_fma_f64 v[4:5], v[22:23], s[4:5], v[4:5]
	v_add_f64 v[48:49], v[2:3], -v[58:59]
	v_add_f64 v[2:3], v[146:147], v[70:71]
	v_add_f64 v[42:43], v[50:51], v[62:63]
	v_add_f64 v[58:59], v[12:13], -v[54:55]
	v_add_f64 v[54:55], v[50:51], -v[62:63]
	v_add_f64 v[22:23], v[14:15], v[4:5]
	v_add_f64 v[50:51], v[14:15], -v[4:5]
	v_fma_f64 v[2:3], v[2:3], -0.5, v[8:9]
	v_add_f64 v[4:5], v[6:7], -v[66:67]
	v_add_f64 v[8:9], v[146:147], -v[70:71]
	v_fma_f64 v[12:13], v[4:5], s[2:3], v[2:3]
	v_fma_f64 v[2:3], v[4:5], s[4:5], v[2:3]
	v_add_f64 v[4:5], v[10:11], v[6:7]
	v_add_f64 v[6:7], v[6:7], v[66:67]
	;; [unrolled: 1-line block ×3, first 2 shown]
	v_fma_f64 v[6:7], v[6:7], -0.5, v[10:11]
	v_add_f64 v[10:11], v[138:139], v[64:65]
	v_fma_f64 v[14:15], v[8:9], s[4:5], v[6:7]
	v_fma_f64 v[10:11], v[10:11], -0.5, v[80:81]
	v_fma_f64 v[6:7], v[8:9], s[2:3], v[6:7]
	v_add_f64 v[8:9], v[80:81], v[138:139]
	v_fma_f64 v[18:19], v[16:17], s[2:3], v[10:11]
	v_fma_f64 v[10:11], v[16:17], s[4:5], v[10:11]
	v_add_f64 v[16:17], v[76:77], v[68:69]
	v_add_f64 v[8:9], v[8:9], v[64:65]
	;; [unrolled: 1-line block ×4, first 2 shown]
	v_add_f64 v[60:61], v[138:139], -v[64:65]
	v_add_f64 v[64:65], v[0:1], v[8:9]
	v_add_f64 v[8:9], v[0:1], -v[8:9]
	v_add_f64 v[0:1], v[112:113], v[78:79]
	v_add_f64 v[66:67], v[4:5], v[70:71]
	v_fma_f64 v[16:17], v[16:17], -0.5, v[76:77]
	v_fma_f64 v[62:63], v[60:61], s[4:5], v[16:17]
	v_fma_f64 v[68:69], v[60:61], s[2:3], v[16:17]
	v_mul_f64 v[16:17], v[62:63], s[2:3]
	v_fma_f64 v[76:77], v[18:19], 0.5, v[16:17]
	v_mul_f64 v[18:19], v[18:19], s[4:5]
	v_mul_f64 v[16:17], v[10:11], -0.5
	v_add_f64 v[60:61], v[12:13], v[76:77]
	v_fma_f64 v[84:85], v[62:63], 0.5, v[18:19]
	v_mul_f64 v[18:19], v[68:69], -0.5
	v_fma_f64 v[80:81], v[68:69], s[2:3], v[16:17]
	v_add_f64 v[12:13], v[12:13], -v[76:77]
	v_add_f64 v[62:63], v[14:15], v[84:85]
	v_fma_f64 v[88:89], v[10:11], s[4:5], v[18:19]
	v_add_f64 v[10:11], v[4:5], -v[70:71]
	v_add_f64 v[4:5], v[0:1], v[74:75]
	v_add_f64 v[0:1], v[78:79], v[74:75]
	;; [unrolled: 1-line block ×3, first 2 shown]
	v_add_f64 v[68:69], v[2:3], -v[80:81]
	v_add_f64 v[2:3], v[90:91], -v[72:73]
	;; [unrolled: 1-line block ×4, first 2 shown]
	v_add_f64 v[18:19], v[6:7], v[88:89]
	v_add_f64 v[70:71], v[6:7], -v[88:89]
	v_fma_f64 v[0:1], v[0:1], -0.5, v[112:113]
	v_fma_f64 v[6:7], v[2:3], s[2:3], v[0:1]
	v_fma_f64 v[76:77], v[2:3], s[4:5], v[0:1]
	v_add_f64 v[0:1], v[114:115], v[90:91]
	v_add_f64 v[2:3], v[78:79], -v[74:75]
	v_add_f64 v[92:93], v[0:1], v[72:73]
	v_add_f64 v[0:1], v[90:91], v[72:73]
	v_fma_f64 v[0:1], v[0:1], -0.5, v[114:115]
	v_fma_f64 v[74:75], v[2:3], s[4:5], v[0:1]
	v_fma_f64 v[78:79], v[2:3], s[2:3], v[0:1]
	v_add_f64 v[0:1], v[136:137], v[86:87]
	v_add_f64 v[2:3], v[82:83], -v[118:119]
	v_add_f64 v[72:73], v[0:1], v[116:117]
	v_add_f64 v[0:1], v[86:87], v[116:117]
	;; [unrolled: 1-line block ×3, first 2 shown]
	v_fma_f64 v[0:1], v[0:1], -0.5, v[136:137]
	v_add_f64 v[4:5], v[4:5], -v[72:73]
	v_fma_f64 v[88:89], v[2:3], s[2:3], v[0:1]
	v_fma_f64 v[2:3], v[2:3], s[4:5], v[0:1]
	v_add_f64 v[0:1], v[148:149], v[82:83]
	v_add_f64 v[90:91], v[0:1], v[118:119]
	;; [unrolled: 1-line block ×4, first 2 shown]
	v_fma_f64 v[0:1], v[0:1], -0.5, v[148:149]
	v_fma_f64 v[82:83], v[80:81], s[4:5], v[0:1]
	v_fma_f64 v[98:99], v[80:81], s[2:3], v[0:1]
	v_mul_f64 v[0:1], v[82:83], s[2:3]
	v_fma_f64 v[112:113], v[88:89], 0.5, v[0:1]
	v_mul_f64 v[0:1], v[2:3], -0.5
	v_mul_f64 v[88:89], v[88:89], s[4:5]
	v_add_f64 v[80:81], v[6:7], v[112:113]
	v_fma_f64 v[114:115], v[98:99], s[2:3], v[0:1]
	v_fma_f64 v[116:117], v[82:83], 0.5, v[88:89]
	v_mul_f64 v[88:89], v[98:99], -0.5
	v_add_f64 v[72:73], v[6:7], -v[112:113]
	v_add_f64 v[6:7], v[92:93], -v[90:91]
	v_add_f64 v[0:1], v[76:77], v[114:115]
	v_add_f64 v[82:83], v[74:75], v[116:117]
	v_fma_f64 v[98:99], v[2:3], s[4:5], v[88:89]
	v_add_f64 v[88:89], v[76:77], -v[114:115]
	v_add_f64 v[76:77], v[100:101], v[104:105]
	v_add_f64 v[74:75], v[74:75], -v[116:117]
	v_add_f64 v[2:3], v[78:79], v[98:99]
	;; [unrolled: 2-line block ×3, first 2 shown]
	v_add_f64 v[76:77], v[104:105], v[108:109]
	v_add_f64 v[78:79], v[106:107], -v[110:111]
	v_fma_f64 v[76:77], v[76:77], -0.5, v[100:101]
	v_fma_f64 v[100:101], v[78:79], s[2:3], v[76:77]
	v_fma_f64 v[112:113], v[78:79], s[4:5], v[76:77]
	v_add_f64 v[76:77], v[102:103], v[106:107]
	v_add_f64 v[78:79], v[104:105], -v[108:109]
	v_add_f64 v[114:115], v[76:77], v[110:111]
	v_add_f64 v[76:77], v[106:107], v[110:111]
	v_fma_f64 v[76:77], v[76:77], -0.5, v[102:103]
	v_fma_f64 v[102:103], v[78:79], s[4:5], v[76:77]
	v_fma_f64 v[106:107], v[78:79], s[2:3], v[76:77]
	v_add_f64 v[76:77], v[152:153], v[94:95]
	v_add_f64 v[78:79], v[96:97], -v[24:25]
	v_add_f64 v[104:105], v[76:77], v[26:27]
	v_add_f64 v[76:77], v[94:95], v[26:27]
	v_add_f64 v[26:27], v[94:95], -v[26:27]
	v_fma_f64 v[76:77], v[76:77], -0.5, v[152:153]
	v_fma_f64 v[108:109], v[78:79], s[2:3], v[76:77]
	v_fma_f64 v[110:111], v[78:79], s[4:5], v[76:77]
	v_add_f64 v[76:77], v[156:157], v[96:97]
	v_add_f64 v[116:117], v[76:77], v[24:25]
	;; [unrolled: 1-line block ×3, first 2 shown]
	v_mul_f64 v[96:97], v[108:109], s[4:5]
	v_fma_f64 v[24:25], v[24:25], -0.5, v[156:157]
	v_fma_f64 v[78:79], v[26:27], s[4:5], v[24:25]
	v_fma_f64 v[94:95], v[26:27], s[2:3], v[24:25]
	v_add_f64 v[24:25], v[98:99], v[104:105]
	v_mul_f64 v[26:27], v[78:79], s[2:3]
	v_fma_f64 v[118:119], v[108:109], 0.5, v[26:27]
	v_mul_f64 v[26:27], v[110:111], -0.5
	v_fma_f64 v[108:109], v[78:79], 0.5, v[96:97]
	v_add_f64 v[96:97], v[98:99], -v[104:105]
	v_add_f64 v[98:99], v[114:115], -v[116:117]
	v_add_f64 v[76:77], v[100:101], v[118:119]
	v_fma_f64 v[122:123], v[94:95], s[2:3], v[26:27]
	v_mul_f64 v[94:95], v[94:95], -0.5
	v_add_f64 v[26:27], v[114:115], v[116:117]
	v_add_f64 v[78:79], v[102:103], v[108:109]
	v_add_f64 v[100:101], v[100:101], -v[118:119]
	v_add_f64 v[102:103], v[102:103], -v[108:109]
	v_add_f64 v[92:93], v[112:113], v[122:123]
	v_fma_f64 v[110:111], v[110:111], s[4:5], v[94:95]
	v_add_f64 v[104:105], v[112:113], -v[122:123]
	v_add_f64 v[94:95], v[106:107], v[110:111]
	v_add_f64 v[106:107], v[106:107], -v[110:111]
	ds_write_b128 v120, v[128:131]
	ds_write_b128 v120, v[132:135] offset:8640
	ds_write_b128 v120, v[140:143] offset:17280
	;; [unrolled: 1-line block ×29, first 2 shown]
	v_add_co_u32 v12, vcc_lo, 0xca80, v121
	v_add_co_ci_u32_e32 v13, vcc_lo, 0, v162, vcc_lo
	v_add_co_u32 v4, vcc_lo, 0xc800, v121
	v_add_co_ci_u32_e32 v5, vcc_lo, 0, v162, vcc_lo
	s_waitcnt lgkmcnt(0)
	s_waitcnt_vscnt null, 0x0
	s_barrier
	buffer_gl0_inv
	global_load_dwordx4 v[4:7], v[4:5], off offset:640
	ds_read_b128 v[0:3], v120
	s_waitcnt vmcnt(0) lgkmcnt(0)
	v_mul_f64 v[8:9], v[2:3], v[6:7]
	v_fma_f64 v[8:9], v[0:1], v[4:5], -v[8:9]
	v_mul_f64 v[0:1], v[0:1], v[6:7]
	v_fma_f64 v[10:11], v[2:3], v[4:5], v[0:1]
	v_add_co_u32 v4, vcc_lo, 0x10800, v121
	v_add_co_ci_u32_e32 v5, vcc_lo, 0, v162, vcc_lo
	ds_read_b128 v[0:3], v120 offset:17280
	global_load_dwordx4 v[4:7], v[4:5], off offset:1536
	ds_write_b128 v120, v[8:11]
	s_waitcnt vmcnt(0) lgkmcnt(1)
	v_mul_f64 v[8:9], v[2:3], v[6:7]
	v_fma_f64 v[8:9], v[0:1], v[4:5], -v[8:9]
	v_mul_f64 v[0:1], v[0:1], v[6:7]
	v_fma_f64 v[10:11], v[2:3], v[4:5], v[0:1]
	v_add_co_u32 v4, vcc_lo, 0x15000, v121
	v_add_co_ci_u32_e32 v5, vcc_lo, 0, v162, vcc_lo
	ds_read_b128 v[0:3], v120 offset:34560
	global_load_dwordx4 v[4:7], v[4:5], off offset:384
	ds_write_b128 v120, v[8:11] offset:17280
	s_waitcnt vmcnt(0) lgkmcnt(1)
	v_mul_f64 v[8:9], v[2:3], v[6:7]
	v_fma_f64 v[8:9], v[0:1], v[4:5], -v[8:9]
	v_mul_f64 v[0:1], v[0:1], v[6:7]
	v_fma_f64 v[10:11], v[2:3], v[4:5], v[0:1]
	global_load_dwordx4 v[4:7], v[12:13], off offset:1728
	ds_read_b128 v[0:3], v120 offset:1728
	ds_write_b128 v120, v[8:11] offset:34560
	s_waitcnt vmcnt(0) lgkmcnt(1)
	v_mul_f64 v[8:9], v[2:3], v[6:7]
	v_fma_f64 v[8:9], v[0:1], v[4:5], -v[8:9]
	v_mul_f64 v[0:1], v[0:1], v[6:7]
	v_fma_f64 v[10:11], v[2:3], v[4:5], v[0:1]
	v_add_co_u32 v4, vcc_lo, 0x11000, v121
	v_add_co_ci_u32_e32 v5, vcc_lo, 0, v162, vcc_lo
	ds_read_b128 v[0:3], v120 offset:19008
	v_add_co_u32 v12, vcc_lo, 0x15800, v121
	global_load_dwordx4 v[4:7], v[4:5], off offset:1216
	v_add_co_ci_u32_e32 v13, vcc_lo, 0, v162, vcc_lo
	v_add_co_u32 v14, vcc_lo, 0xd800, v121
	v_add_co_ci_u32_e32 v15, vcc_lo, 0, v162, vcc_lo
	ds_write_b128 v120, v[8:11] offset:1728
	s_waitcnt vmcnt(0) lgkmcnt(1)
	v_mul_f64 v[8:9], v[2:3], v[6:7]
	v_fma_f64 v[8:9], v[0:1], v[4:5], -v[8:9]
	v_mul_f64 v[0:1], v[0:1], v[6:7]
	v_fma_f64 v[10:11], v[2:3], v[4:5], v[0:1]
	global_load_dwordx4 v[4:7], v[12:13], off offset:64
	ds_read_b128 v[0:3], v120 offset:36288
	ds_write_b128 v120, v[8:11] offset:19008
	s_waitcnt vmcnt(0) lgkmcnt(1)
	v_mul_f64 v[8:9], v[2:3], v[6:7]
	v_fma_f64 v[8:9], v[0:1], v[4:5], -v[8:9]
	v_mul_f64 v[0:1], v[0:1], v[6:7]
	v_fma_f64 v[10:11], v[2:3], v[4:5], v[0:1]
	global_load_dwordx4 v[4:7], v[14:15], off
	ds_read_b128 v[0:3], v120 offset:3456
	ds_write_b128 v120, v[8:11] offset:36288
	s_waitcnt vmcnt(0) lgkmcnt(1)
	v_mul_f64 v[8:9], v[2:3], v[6:7]
	v_fma_f64 v[8:9], v[0:1], v[4:5], -v[8:9]
	v_mul_f64 v[0:1], v[0:1], v[6:7]
	v_fma_f64 v[10:11], v[2:3], v[4:5], v[0:1]
	v_add_co_u32 v4, vcc_lo, 0x11800, v121
	v_add_co_ci_u32_e32 v5, vcc_lo, 0, v162, vcc_lo
	ds_read_b128 v[0:3], v120 offset:20736
	global_load_dwordx4 v[4:7], v[4:5], off offset:896
	ds_write_b128 v120, v[8:11] offset:3456
	s_waitcnt vmcnt(0) lgkmcnt(1)
	v_mul_f64 v[8:9], v[2:3], v[6:7]
	v_fma_f64 v[8:9], v[0:1], v[4:5], -v[8:9]
	v_mul_f64 v[0:1], v[0:1], v[6:7]
	v_fma_f64 v[10:11], v[2:3], v[4:5], v[0:1]
	global_load_dwordx4 v[4:7], v[12:13], off offset:1792
	ds_read_b128 v[0:3], v120 offset:38016
	ds_write_b128 v120, v[8:11] offset:20736
	s_waitcnt vmcnt(0) lgkmcnt(1)
	v_mul_f64 v[8:9], v[2:3], v[6:7]
	v_fma_f64 v[8:9], v[0:1], v[4:5], -v[8:9]
	v_mul_f64 v[0:1], v[0:1], v[6:7]
	v_fma_f64 v[10:11], v[2:3], v[4:5], v[0:1]
	global_load_dwordx4 v[4:7], v[14:15], off offset:1728
	ds_read_b128 v[0:3], v120 offset:5184
	ds_write_b128 v120, v[8:11] offset:38016
	s_waitcnt vmcnt(0) lgkmcnt(1)
	v_mul_f64 v[8:9], v[2:3], v[6:7]
	v_fma_f64 v[8:9], v[0:1], v[4:5], -v[8:9]
	v_mul_f64 v[0:1], v[0:1], v[6:7]
	v_fma_f64 v[10:11], v[2:3], v[4:5], v[0:1]
	v_add_co_u32 v4, vcc_lo, 0x12000, v121
	v_add_co_ci_u32_e32 v5, vcc_lo, 0, v162, vcc_lo
	ds_read_b128 v[0:3], v120 offset:22464
	global_load_dwordx4 v[4:7], v[4:5], off offset:576
	ds_write_b128 v120, v[8:11] offset:5184
	s_waitcnt vmcnt(0) lgkmcnt(1)
	v_mul_f64 v[8:9], v[2:3], v[6:7]
	v_fma_f64 v[8:9], v[0:1], v[4:5], -v[8:9]
	v_mul_f64 v[0:1], v[0:1], v[6:7]
	v_fma_f64 v[10:11], v[2:3], v[4:5], v[0:1]
	v_add_co_u32 v4, vcc_lo, 0x16000, v121
	v_add_co_ci_u32_e32 v5, vcc_lo, 0, v162, vcc_lo
	ds_read_b128 v[0:3], v120 offset:39744
	global_load_dwordx4 v[4:7], v[4:5], off offset:1472
	ds_write_b128 v120, v[8:11] offset:22464
	s_waitcnt vmcnt(0) lgkmcnt(1)
	v_mul_f64 v[8:9], v[2:3], v[6:7]
	v_fma_f64 v[8:9], v[0:1], v[4:5], -v[8:9]
	v_mul_f64 v[0:1], v[0:1], v[6:7]
	v_fma_f64 v[10:11], v[2:3], v[4:5], v[0:1]
	v_add_co_u32 v4, vcc_lo, 0xe000, v121
	v_add_co_ci_u32_e32 v5, vcc_lo, 0, v162, vcc_lo
	ds_read_b128 v[0:3], v120 offset:6912
	v_add_co_u32 v12, vcc_lo, 0x12800, v121
	global_load_dwordx4 v[4:7], v[4:5], off offset:1408
	v_add_co_ci_u32_e32 v13, vcc_lo, 0, v162, vcc_lo
	ds_write_b128 v120, v[8:11] offset:39744
	s_waitcnt vmcnt(0) lgkmcnt(1)
	v_mul_f64 v[8:9], v[2:3], v[6:7]
	v_fma_f64 v[8:9], v[0:1], v[4:5], -v[8:9]
	v_mul_f64 v[0:1], v[0:1], v[6:7]
	v_fma_f64 v[10:11], v[2:3], v[4:5], v[0:1]
	global_load_dwordx4 v[4:7], v[12:13], off offset:256
	ds_read_b128 v[0:3], v120 offset:24192
	ds_write_b128 v120, v[8:11] offset:6912
	s_waitcnt vmcnt(0) lgkmcnt(1)
	v_mul_f64 v[8:9], v[2:3], v[6:7]
	v_fma_f64 v[8:9], v[0:1], v[4:5], -v[8:9]
	v_mul_f64 v[0:1], v[0:1], v[6:7]
	v_fma_f64 v[10:11], v[2:3], v[4:5], v[0:1]
	v_add_co_u32 v4, vcc_lo, 0x16800, v121
	v_add_co_ci_u32_e32 v5, vcc_lo, 0, v162, vcc_lo
	ds_read_b128 v[0:3], v120 offset:41472
	global_load_dwordx4 v[4:7], v[4:5], off offset:1152
	ds_write_b128 v120, v[8:11] offset:24192
	s_waitcnt vmcnt(0) lgkmcnt(1)
	v_mul_f64 v[8:9], v[2:3], v[6:7]
	v_fma_f64 v[8:9], v[0:1], v[4:5], -v[8:9]
	v_mul_f64 v[0:1], v[0:1], v[6:7]
	v_fma_f64 v[10:11], v[2:3], v[4:5], v[0:1]
	v_add_co_u32 v4, vcc_lo, 0xe800, v121
	v_add_co_ci_u32_e32 v5, vcc_lo, 0, v162, vcc_lo
	ds_read_b128 v[0:3], v120 offset:8640
	global_load_dwordx4 v[4:7], v[4:5], off offset:1088
	ds_write_b128 v120, v[8:11] offset:41472
	s_waitcnt vmcnt(0) lgkmcnt(1)
	v_mul_f64 v[8:9], v[2:3], v[6:7]
	v_fma_f64 v[8:9], v[0:1], v[4:5], -v[8:9]
	v_mul_f64 v[0:1], v[0:1], v[6:7]
	v_fma_f64 v[10:11], v[2:3], v[4:5], v[0:1]
	global_load_dwordx4 v[4:7], v[12:13], off offset:1984
	ds_read_b128 v[0:3], v120 offset:25920
	ds_write_b128 v120, v[8:11] offset:8640
	s_waitcnt vmcnt(0) lgkmcnt(1)
	v_mul_f64 v[8:9], v[2:3], v[6:7]
	v_fma_f64 v[8:9], v[0:1], v[4:5], -v[8:9]
	v_mul_f64 v[0:1], v[0:1], v[6:7]
	v_fma_f64 v[10:11], v[2:3], v[4:5], v[0:1]
	v_add_co_u32 v4, vcc_lo, 0x17000, v121
	v_add_co_ci_u32_e32 v5, vcc_lo, 0, v162, vcc_lo
	ds_read_b128 v[0:3], v120 offset:43200
	global_load_dwordx4 v[4:7], v[4:5], off offset:832
	ds_write_b128 v120, v[8:11] offset:25920
	s_waitcnt vmcnt(0) lgkmcnt(1)
	v_mul_f64 v[8:9], v[2:3], v[6:7]
	v_fma_f64 v[8:9], v[0:1], v[4:5], -v[8:9]
	v_mul_f64 v[0:1], v[0:1], v[6:7]
	v_fma_f64 v[10:11], v[2:3], v[4:5], v[0:1]
	v_add_co_u32 v4, vcc_lo, 0xf000, v121
	v_add_co_ci_u32_e32 v5, vcc_lo, 0, v162, vcc_lo
	ds_read_b128 v[0:3], v120 offset:10368
	global_load_dwordx4 v[4:7], v[4:5], off offset:768
	;; [unrolled: 10-line block ×5, first 2 shown]
	ds_write_b128 v120, v[8:11] offset:44928
	s_waitcnt vmcnt(0) lgkmcnt(1)
	v_mul_f64 v[8:9], v[2:3], v[6:7]
	v_fma_f64 v[8:9], v[0:1], v[4:5], -v[8:9]
	v_mul_f64 v[0:1], v[0:1], v[6:7]
	v_fma_f64 v[10:11], v[2:3], v[4:5], v[0:1]
	v_add_co_u32 v4, vcc_lo, 0x13800, v121
	v_add_co_ci_u32_e32 v5, vcc_lo, 0, v162, vcc_lo
	ds_read_b128 v[0:3], v120 offset:29376
	v_add_co_u32 v12, vcc_lo, 0x18000, v121
	global_load_dwordx4 v[4:7], v[4:5], off offset:1344
	v_add_co_ci_u32_e32 v13, vcc_lo, 0, v162, vcc_lo
	v_add_co_u32 v14, vcc_lo, 0x10000, v121
	v_add_co_ci_u32_e32 v15, vcc_lo, 0, v162, vcc_lo
	ds_write_b128 v120, v[8:11] offset:12096
	s_waitcnt vmcnt(0) lgkmcnt(1)
	v_mul_f64 v[8:9], v[2:3], v[6:7]
	v_fma_f64 v[8:9], v[0:1], v[4:5], -v[8:9]
	v_mul_f64 v[0:1], v[0:1], v[6:7]
	v_fma_f64 v[10:11], v[2:3], v[4:5], v[0:1]
	global_load_dwordx4 v[4:7], v[12:13], off offset:192
	ds_read_b128 v[0:3], v120 offset:46656
	ds_write_b128 v120, v[8:11] offset:29376
	s_waitcnt vmcnt(0) lgkmcnt(1)
	v_mul_f64 v[8:9], v[2:3], v[6:7]
	v_fma_f64 v[8:9], v[0:1], v[4:5], -v[8:9]
	v_mul_f64 v[0:1], v[0:1], v[6:7]
	v_fma_f64 v[10:11], v[2:3], v[4:5], v[0:1]
	global_load_dwordx4 v[4:7], v[14:15], off offset:128
	ds_read_b128 v[0:3], v120 offset:13824
	ds_write_b128 v120, v[8:11] offset:46656
	s_waitcnt vmcnt(0) lgkmcnt(1)
	v_mul_f64 v[8:9], v[2:3], v[6:7]
	v_fma_f64 v[8:9], v[0:1], v[4:5], -v[8:9]
	v_mul_f64 v[0:1], v[0:1], v[6:7]
	v_fma_f64 v[10:11], v[2:3], v[4:5], v[0:1]
	v_add_co_u32 v4, vcc_lo, 0x14000, v121
	v_add_co_ci_u32_e32 v5, vcc_lo, 0, v162, vcc_lo
	ds_read_b128 v[0:3], v120 offset:31104
	global_load_dwordx4 v[4:7], v[4:5], off offset:1024
	ds_write_b128 v120, v[8:11] offset:13824
	s_waitcnt vmcnt(0) lgkmcnt(1)
	v_mul_f64 v[8:9], v[2:3], v[6:7]
	v_fma_f64 v[8:9], v[0:1], v[4:5], -v[8:9]
	v_mul_f64 v[0:1], v[0:1], v[6:7]
	v_fma_f64 v[10:11], v[2:3], v[4:5], v[0:1]
	global_load_dwordx4 v[4:7], v[12:13], off offset:1920
	ds_read_b128 v[0:3], v120 offset:48384
	ds_write_b128 v120, v[8:11] offset:31104
	s_waitcnt vmcnt(0) lgkmcnt(1)
	v_mul_f64 v[8:9], v[2:3], v[6:7]
	v_fma_f64 v[8:9], v[0:1], v[4:5], -v[8:9]
	v_mul_f64 v[0:1], v[0:1], v[6:7]
	v_fma_f64 v[10:11], v[2:3], v[4:5], v[0:1]
	global_load_dwordx4 v[4:7], v[14:15], off offset:1856
	ds_read_b128 v[0:3], v120 offset:15552
	ds_write_b128 v120, v[8:11] offset:48384
	s_waitcnt vmcnt(0) lgkmcnt(1)
	v_mul_f64 v[8:9], v[2:3], v[6:7]
	v_fma_f64 v[8:9], v[0:1], v[4:5], -v[8:9]
	v_mul_f64 v[0:1], v[0:1], v[6:7]
	v_fma_f64 v[10:11], v[2:3], v[4:5], v[0:1]
	v_add_co_u32 v4, vcc_lo, 0x14800, v121
	v_add_co_ci_u32_e32 v5, vcc_lo, 0, v162, vcc_lo
	ds_read_b128 v[0:3], v120 offset:32832
	global_load_dwordx4 v[4:7], v[4:5], off offset:704
	ds_write_b128 v120, v[8:11] offset:15552
	s_waitcnt vmcnt(0) lgkmcnt(1)
	v_mul_f64 v[8:9], v[2:3], v[6:7]
	v_fma_f64 v[8:9], v[0:1], v[4:5], -v[8:9]
	v_mul_f64 v[0:1], v[0:1], v[6:7]
	v_fma_f64 v[10:11], v[2:3], v[4:5], v[0:1]
	v_add_co_u32 v4, vcc_lo, 0x18800, v121
	v_add_co_ci_u32_e32 v5, vcc_lo, 0, v162, vcc_lo
	ds_read_b128 v[0:3], v120 offset:50112
	global_load_dwordx4 v[4:7], v[4:5], off offset:1600
	ds_write_b128 v120, v[8:11] offset:32832
	s_waitcnt vmcnt(0) lgkmcnt(1)
	v_mul_f64 v[8:9], v[2:3], v[6:7]
	v_fma_f64 v[8:9], v[0:1], v[4:5], -v[8:9]
	v_mul_f64 v[0:1], v[0:1], v[6:7]
	v_fma_f64 v[10:11], v[2:3], v[4:5], v[0:1]
	ds_write_b128 v120, v[8:11] offset:50112
	s_waitcnt lgkmcnt(0)
	s_barrier
	buffer_gl0_inv
	ds_read_b128 v[76:79], v120
	ds_read_b128 v[80:83], v120 offset:17280
	ds_read_b128 v[100:103], v120 offset:34560
	;; [unrolled: 1-line block ×29, first 2 shown]
	s_waitcnt lgkmcnt(28)
	v_add_f64 v[112:113], v[76:77], v[80:81]
	s_waitcnt lgkmcnt(0)
	s_barrier
	buffer_gl0_inv
	v_add_f64 v[116:117], v[112:113], v[100:101]
	v_add_f64 v[112:113], v[80:81], v[100:101]
	v_fma_f64 v[76:77], v[112:113], -0.5, v[76:77]
	v_add_f64 v[112:113], v[82:83], -v[102:103]
	v_fma_f64 v[128:129], v[112:113], s[4:5], v[76:77]
	v_fma_f64 v[124:125], v[112:113], s[2:3], v[76:77]
	v_add_f64 v[76:77], v[78:79], v[82:83]
	v_add_f64 v[118:119], v[76:77], v[102:103]
	;; [unrolled: 1-line block ×3, first 2 shown]
	v_add_f64 v[82:83], v[134:135], -v[138:139]
	v_add_f64 v[102:103], v[132:133], -v[136:137]
	v_fma_f64 v[76:77], v[76:77], -0.5, v[78:79]
	v_add_f64 v[78:79], v[80:81], -v[100:101]
	v_fma_f64 v[130:131], v[78:79], s[2:3], v[76:77]
	v_fma_f64 v[126:127], v[78:79], s[4:5], v[76:77]
	v_add_f64 v[76:77], v[104:105], v[132:133]
	v_add_f64 v[80:81], v[76:77], v[136:137]
	;; [unrolled: 1-line block ×3, first 2 shown]
	v_fma_f64 v[78:79], v[76:77], -0.5, v[104:105]
	v_fma_f64 v[76:77], v[82:83], s[4:5], v[78:79]
	v_fma_f64 v[112:113], v[82:83], s[2:3], v[78:79]
	v_add_f64 v[78:79], v[106:107], v[134:135]
	v_add_f64 v[82:83], v[78:79], v[138:139]
	;; [unrolled: 1-line block ×3, first 2 shown]
	v_fma_f64 v[100:101], v[78:79], -0.5, v[106:107]
	v_fma_f64 v[78:79], v[102:103], s[2:3], v[100:101]
	v_fma_f64 v[114:115], v[102:103], s[4:5], v[100:101]
	v_add_f64 v[100:101], v[96:97], v[68:69]
	v_add_f64 v[102:103], v[70:71], -v[110:111]
	v_add_f64 v[104:105], v[100:101], v[108:109]
	v_add_f64 v[100:101], v[68:69], v[108:109]
	v_add_f64 v[68:69], v[68:69], -v[108:109]
	v_add_f64 v[108:109], v[6:7], -v[2:3]
	v_fma_f64 v[96:97], v[100:101], -0.5, v[96:97]
	v_fma_f64 v[100:101], v[102:103], s[4:5], v[96:97]
	v_fma_f64 v[96:97], v[102:103], s[2:3], v[96:97]
	v_add_f64 v[102:103], v[98:99], v[70:71]
	v_add_f64 v[70:71], v[70:71], v[110:111]
	;; [unrolled: 1-line block ×3, first 2 shown]
	v_fma_f64 v[70:71], v[70:71], -0.5, v[98:99]
	v_fma_f64 v[102:103], v[68:69], s[2:3], v[70:71]
	v_fma_f64 v[98:99], v[68:69], s[4:5], v[70:71]
	v_add_f64 v[70:71], v[4:5], v[0:1]
	v_add_f64 v[68:69], v[72:73], v[4:5]
	v_fma_f64 v[70:71], v[70:71], -0.5, v[72:73]
	v_add_f64 v[68:69], v[68:69], v[0:1]
	v_add_f64 v[0:1], v[4:5], -v[0:1]
	v_fma_f64 v[72:73], v[108:109], s[4:5], v[70:71]
	v_fma_f64 v[108:109], v[108:109], s[2:3], v[70:71]
	v_add_f64 v[70:71], v[74:75], v[6:7]
	v_add_f64 v[70:71], v[70:71], v[2:3]
	;; [unrolled: 1-line block ×3, first 2 shown]
	v_add_f64 v[6:7], v[86:87], -v[90:91]
	v_fma_f64 v[2:3], v[2:3], -0.5, v[74:75]
	v_fma_f64 v[74:75], v[0:1], s[2:3], v[2:3]
	v_fma_f64 v[110:111], v[0:1], s[4:5], v[2:3]
	v_add_f64 v[2:3], v[84:85], v[88:89]
	v_add_f64 v[0:1], v[92:93], v[84:85]
	v_add_f64 v[84:85], v[84:85], -v[88:89]
	v_fma_f64 v[2:3], v[2:3], -0.5, v[92:93]
	v_add_f64 v[0:1], v[0:1], v[88:89]
	v_fma_f64 v[4:5], v[6:7], s[4:5], v[2:3]
	v_fma_f64 v[92:93], v[6:7], s[2:3], v[2:3]
	v_add_f64 v[6:7], v[86:87], v[90:91]
	v_add_f64 v[2:3], v[94:95], v[86:87]
	v_fma_f64 v[86:87], v[6:7], -0.5, v[94:95]
	v_add_f64 v[2:3], v[2:3], v[90:91]
	v_fma_f64 v[6:7], v[84:85], s[2:3], v[86:87]
	v_fma_f64 v[94:95], v[84:85], s[4:5], v[86:87]
	v_add_f64 v[84:85], v[56:57], v[48:49]
	v_add_f64 v[86:87], v[50:51], -v[54:55]
	v_add_f64 v[88:89], v[84:85], v[52:53]
	v_add_f64 v[84:85], v[48:49], v[52:53]
	v_add_f64 v[48:49], v[48:49], -v[52:53]
	v_add_f64 v[52:53], v[38:39], -v[42:43]
	v_fma_f64 v[56:57], v[84:85], -0.5, v[56:57]
	v_fma_f64 v[84:85], v[86:87], s[4:5], v[56:57]
	v_fma_f64 v[56:57], v[86:87], s[2:3], v[56:57]
	v_add_f64 v[86:87], v[58:59], v[50:51]
	v_add_f64 v[50:51], v[50:51], v[54:55]
	;; [unrolled: 1-line block ×3, first 2 shown]
	v_fma_f64 v[50:51], v[50:51], -0.5, v[58:59]
	v_fma_f64 v[86:87], v[48:49], s[2:3], v[50:51]
	v_fma_f64 v[58:59], v[48:49], s[4:5], v[50:51]
	v_add_f64 v[50:51], v[36:37], v[40:41]
	v_add_f64 v[48:49], v[44:45], v[36:37]
	v_add_f64 v[36:37], v[36:37], -v[40:41]
	v_fma_f64 v[50:51], v[50:51], -0.5, v[44:45]
	v_add_f64 v[48:49], v[48:49], v[40:41]
	v_add_f64 v[40:41], v[26:27], -v[30:31]
	v_fma_f64 v[44:45], v[52:53], s[4:5], v[50:51]
	v_fma_f64 v[52:53], v[52:53], s[2:3], v[50:51]
	v_add_f64 v[50:51], v[46:47], v[38:39]
	v_add_f64 v[38:39], v[38:39], v[42:43]
	;; [unrolled: 1-line block ×3, first 2 shown]
	v_fma_f64 v[38:39], v[38:39], -0.5, v[46:47]
	v_fma_f64 v[46:47], v[36:37], s[2:3], v[38:39]
	v_fma_f64 v[54:55], v[36:37], s[4:5], v[38:39]
	v_add_f64 v[38:39], v[24:25], v[28:29]
	v_add_f64 v[36:37], v[32:33], v[24:25]
	v_add_f64 v[24:25], v[24:25], -v[28:29]
	v_fma_f64 v[38:39], v[38:39], -0.5, v[32:33]
	v_add_f64 v[36:37], v[36:37], v[28:29]
	v_fma_f64 v[32:33], v[40:41], s[4:5], v[38:39]
	v_fma_f64 v[40:41], v[40:41], s[2:3], v[38:39]
	v_add_f64 v[38:39], v[34:35], v[26:27]
	v_add_f64 v[26:27], v[26:27], v[30:31]
	;; [unrolled: 1-line block ×3, first 2 shown]
	v_fma_f64 v[26:27], v[26:27], -0.5, v[34:35]
	v_add_f64 v[30:31], v[14:15], -v[18:19]
	v_fma_f64 v[34:35], v[24:25], s[2:3], v[26:27]
	v_fma_f64 v[42:43], v[24:25], s[4:5], v[26:27]
	v_add_f64 v[26:27], v[12:13], v[16:17]
	v_add_f64 v[24:25], v[60:61], v[12:13]
	v_add_f64 v[12:13], v[12:13], -v[16:17]
	v_fma_f64 v[26:27], v[26:27], -0.5, v[60:61]
	v_add_f64 v[24:25], v[24:25], v[16:17]
	v_fma_f64 v[28:29], v[30:31], s[4:5], v[26:27]
	v_fma_f64 v[60:61], v[30:31], s[2:3], v[26:27]
	v_add_f64 v[26:27], v[62:63], v[14:15]
	v_add_f64 v[14:15], v[14:15], v[18:19]
	;; [unrolled: 1-line block ×3, first 2 shown]
	v_fma_f64 v[14:15], v[14:15], -0.5, v[62:63]
	v_add_f64 v[18:19], v[22:23], -v[10:11]
	v_fma_f64 v[30:31], v[12:13], s[2:3], v[14:15]
	v_fma_f64 v[62:63], v[12:13], s[4:5], v[14:15]
	v_add_f64 v[14:15], v[20:21], v[8:9]
	v_add_f64 v[12:13], v[64:65], v[20:21]
	v_fma_f64 v[14:15], v[14:15], -0.5, v[64:65]
	v_add_f64 v[12:13], v[12:13], v[8:9]
	v_add_f64 v[8:9], v[20:21], -v[8:9]
	v_fma_f64 v[16:17], v[18:19], s[4:5], v[14:15]
	v_fma_f64 v[64:65], v[18:19], s[2:3], v[14:15]
	v_add_f64 v[14:15], v[66:67], v[22:23]
	v_add_f64 v[14:15], v[14:15], v[10:11]
	;; [unrolled: 1-line block ×3, first 2 shown]
	v_fma_f64 v[10:11], v[10:11], -0.5, v[66:67]
	v_fma_f64 v[18:19], v[8:9], s[2:3], v[10:11]
	v_fma_f64 v[66:67], v[8:9], s[4:5], v[10:11]
	buffer_load_dword v8, off, s[28:31], 0 offset:528 ; 4-byte Folded Reload
	s_waitcnt vmcnt(0)
	ds_write_b128 v8, v[116:119]
	ds_write_b128 v8, v[128:131] offset:16
	ds_write_b128 v8, v[124:127] offset:32
	buffer_load_dword v8, off, s[28:31], 0 offset:512 ; 4-byte Folded Reload
	s_waitcnt vmcnt(0)
	ds_write_b128 v8, v[80:83]
	ds_write_b128 v8, v[76:79] offset:16
	ds_write_b128 v8, v[112:115] offset:32
	buffer_load_dword v8, off, s[28:31], 0 offset:520 ; 4-byte Folded Reload
	s_waitcnt vmcnt(0)
	ds_write_b128 v8, v[104:107]
	ds_write_b128 v8, v[100:103] offset:16
	ds_write_b128 v8, v[96:99] offset:32
	buffer_load_dword v8, off, s[28:31], 0 offset:524 ; 4-byte Folded Reload
	s_waitcnt vmcnt(0)
	ds_write_b128 v8, v[68:71]
	ds_write_b128 v8, v[72:75] offset:16
	ds_write_b128 v8, v[108:111] offset:32
	buffer_load_dword v8, off, s[28:31], 0 offset:504 ; 4-byte Folded Reload
	s_waitcnt vmcnt(0)
	ds_write_b128 v8, v[0:3]
	ds_write_b128 v8, v[4:7] offset:16
	ds_write_b128 v8, v[92:95] offset:32
	buffer_load_dword v0, off, s[28:31], 0 offset:516 ; 4-byte Folded Reload
	s_waitcnt vmcnt(0)
	ds_write_b128 v0, v[88:91]
	ds_write_b128 v0, v[84:87] offset:16
	ds_write_b128 v0, v[56:59] offset:32
	buffer_load_dword v0, off, s[28:31], 0 offset:508 ; 4-byte Folded Reload
	s_waitcnt vmcnt(0)
	ds_write_b128 v0, v[48:51]
	ds_write_b128 v0, v[44:47] offset:16
	ds_write_b128 v0, v[52:55] offset:32
	buffer_load_dword v0, off, s[28:31], 0 offset:500 ; 4-byte Folded Reload
	s_waitcnt vmcnt(0)
	ds_write_b128 v0, v[36:39]
	ds_write_b128 v0, v[32:35] offset:16
	ds_write_b128 v0, v[40:43] offset:32
	buffer_load_dword v0, off, s[28:31], 0 offset:496 ; 4-byte Folded Reload
	s_waitcnt vmcnt(0)
	ds_write_b128 v0, v[24:27]
	ds_write_b128 v0, v[28:31] offset:16
	ds_write_b128 v0, v[60:63] offset:32
	buffer_load_dword v0, off, s[28:31], 0 offset:492 ; 4-byte Folded Reload
	s_waitcnt vmcnt(0)
	ds_write_b128 v0, v[12:15]
	ds_write_b128 v0, v[16:19] offset:16
	ds_write_b128 v0, v[64:67] offset:32
	s_waitcnt lgkmcnt(0)
	s_barrier
	buffer_gl0_inv
	ds_read_b128 v[0:3], v120
	ds_read_b128 v[8:11], v120 offset:17280
	ds_read_b128 v[12:15], v120 offset:34560
	ds_read_b128 v[4:7], v120 offset:1728
	ds_read_b128 v[16:19], v120 offset:19008
	ds_read_b128 v[20:23], v120 offset:36288
	ds_read_b128 v[28:31], v120 offset:3456
	ds_read_b128 v[24:27], v120 offset:20736
	ds_read_b128 v[48:51], v120 offset:38016
	ds_read_b128 v[44:47], v120 offset:5184
	ds_read_b128 v[52:55], v120 offset:22464
	ds_read_b128 v[56:59], v120 offset:39744
	ds_read_b128 v[40:43], v120 offset:6912
	ds_read_b128 v[60:63], v120 offset:24192
	ds_read_b128 v[64:67], v120 offset:41472
	ds_read_b128 v[36:39], v120 offset:8640
	ds_read_b128 v[68:71], v120 offset:25920
	ds_read_b128 v[72:75], v120 offset:43200
	ds_read_b128 v[32:35], v120 offset:10368
	ds_read_b128 v[76:79], v120 offset:27648
	ds_read_b128 v[84:87], v120 offset:44928
	ds_read_b128 v[80:83], v120 offset:12096
	ds_read_b128 v[88:91], v120 offset:29376
	ds_read_b128 v[96:99], v120 offset:46656
	ds_read_b128 v[92:95], v120 offset:13824
	ds_read_b128 v[100:103], v120 offset:31104
	ds_read_b128 v[108:111], v120 offset:48384
	ds_read_b128 v[104:107], v120 offset:15552
	ds_read_b128 v[112:115], v120 offset:32832
	ds_read_b128 v[116:119], v120 offset:50112
	s_clause 0x3
	buffer_load_dword v123, off, s[28:31], 0 offset:548
	buffer_load_dword v124, off, s[28:31], 0 offset:552
	buffer_load_dword v125, off, s[28:31], 0 offset:556
	buffer_load_dword v126, off, s[28:31], 0 offset:560
	s_waitcnt vmcnt(0) lgkmcnt(28)
	v_mul_f64 v[121:122], v[125:126], v[10:11]
	v_fma_f64 v[121:122], v[123:124], v[8:9], v[121:122]
	v_mul_f64 v[8:9], v[125:126], v[8:9]
	s_clause 0x3
	buffer_load_dword v125, off, s[28:31], 0 offset:532
	buffer_load_dword v126, off, s[28:31], 0 offset:536
	;; [unrolled: 1-line block ×4, first 2 shown]
	v_fma_f64 v[10:11], v[123:124], v[10:11], -v[8:9]
	s_waitcnt vmcnt(0) lgkmcnt(27)
	v_mul_f64 v[8:9], v[127:128], v[14:15]
	v_fma_f64 v[123:124], v[125:126], v[12:13], v[8:9]
	v_mul_f64 v[8:9], v[127:128], v[12:13]
	v_fma_f64 v[12:13], v[125:126], v[14:15], -v[8:9]
	s_clause 0x3
	buffer_load_dword v125, off, s[28:31], 0 offset:580
	buffer_load_dword v126, off, s[28:31], 0 offset:584
	buffer_load_dword v127, off, s[28:31], 0 offset:588
	buffer_load_dword v128, off, s[28:31], 0 offset:592
	s_waitcnt vmcnt(0) lgkmcnt(25)
	v_mul_f64 v[8:9], v[127:128], v[18:19]
	v_fma_f64 v[14:15], v[125:126], v[16:17], v[8:9]
	v_mul_f64 v[8:9], v[127:128], v[16:17]
	v_fma_f64 v[125:126], v[125:126], v[18:19], -v[8:9]
	s_clause 0x3
	buffer_load_dword v16, off, s[28:31], 0 offset:564
	buffer_load_dword v17, off, s[28:31], 0 offset:568
	buffer_load_dword v18, off, s[28:31], 0 offset:572
	buffer_load_dword v19, off, s[28:31], 0 offset:576
	;; [unrolled: 10-line block ×3, first 2 shown]
	s_waitcnt vmcnt(0) lgkmcnt(22)
	v_mul_f64 v[8:9], v[18:19], v[26:27]
	v_fma_f64 v[131:132], v[16:17], v[24:25], v[8:9]
	v_mul_f64 v[8:9], v[18:19], v[24:25]
	v_add_f64 v[24:25], v[125:126], v[129:130]
	v_fma_f64 v[133:134], v[16:17], v[26:27], -v[8:9]
	s_clause 0x3
	buffer_load_dword v16, off, s[28:31], 0 offset:596
	buffer_load_dword v17, off, s[28:31], 0 offset:600
	;; [unrolled: 1-line block ×4, first 2 shown]
	v_fma_f64 v[24:25], v[24:25], -0.5, v[6:7]
	s_waitcnt vmcnt(0) lgkmcnt(21)
	v_mul_f64 v[8:9], v[18:19], v[50:51]
	v_fma_f64 v[135:136], v[16:17], v[48:49], v[8:9]
	v_mul_f64 v[8:9], v[18:19], v[48:49]
	v_add_f64 v[26:27], v[131:132], v[135:136]
	v_fma_f64 v[48:49], v[16:17], v[50:51], -v[8:9]
	s_clause 0x3
	buffer_load_dword v16, off, s[28:31], 0 offset:648
	buffer_load_dword v17, off, s[28:31], 0 offset:652
	;; [unrolled: 1-line block ×4, first 2 shown]
	v_fma_f64 v[26:27], v[26:27], -0.5, v[28:29]
	s_waitcnt vmcnt(0) lgkmcnt(19)
	v_mul_f64 v[8:9], v[18:19], v[54:55]
	v_fma_f64 v[50:51], v[16:17], v[52:53], v[8:9]
	v_mul_f64 v[8:9], v[18:19], v[52:53]
	v_fma_f64 v[52:53], v[16:17], v[54:55], -v[8:9]
	s_clause 0x3
	buffer_load_dword v16, off, s[28:31], 0 offset:632
	buffer_load_dword v17, off, s[28:31], 0 offset:636
	;; [unrolled: 1-line block ×4, first 2 shown]
	s_waitcnt vmcnt(0) lgkmcnt(18)
	v_mul_f64 v[8:9], v[18:19], v[58:59]
	v_fma_f64 v[54:55], v[16:17], v[56:57], v[8:9]
	v_mul_f64 v[8:9], v[18:19], v[56:57]
	v_fma_f64 v[56:57], v[16:17], v[58:59], -v[8:9]
	s_clause 0x3
	buffer_load_dword v16, off, s[28:31], 0 offset:824
	buffer_load_dword v17, off, s[28:31], 0 offset:828
	buffer_load_dword v18, off, s[28:31], 0 offset:832
	buffer_load_dword v19, off, s[28:31], 0 offset:836
	s_waitcnt vmcnt(0) lgkmcnt(16)
	v_mul_f64 v[8:9], v[18:19], v[62:63]
	v_fma_f64 v[58:59], v[16:17], v[60:61], v[8:9]
	v_mul_f64 v[8:9], v[18:19], v[60:61]
	v_add_f64 v[60:61], v[133:134], -v[48:49]
	v_fma_f64 v[62:63], v[16:17], v[62:63], -v[8:9]
	s_clause 0x3
	buffer_load_dword v16, off, s[28:31], 0 offset:840
	buffer_load_dword v17, off, s[28:31], 0 offset:844
	buffer_load_dword v18, off, s[28:31], 0 offset:848
	buffer_load_dword v19, off, s[28:31], 0 offset:852
	s_waitcnt vmcnt(0) lgkmcnt(15)
	v_mul_f64 v[8:9], v[18:19], v[66:67]
	v_fma_f64 v[137:138], v[16:17], v[64:65], v[8:9]
	v_mul_f64 v[8:9], v[18:19], v[64:65]
	v_fma_f64 v[66:67], v[16:17], v[66:67], -v[8:9]
	s_clause 0x3
	buffer_load_dword v16, off, s[28:31], 0 offset:860
	buffer_load_dword v17, off, s[28:31], 0 offset:864
	buffer_load_dword v18, off, s[28:31], 0 offset:868
	buffer_load_dword v19, off, s[28:31], 0 offset:872
	s_waitcnt vmcnt(0) lgkmcnt(13)
	v_mul_f64 v[8:9], v[18:19], v[70:71]
	v_fma_f64 v[139:140], v[16:17], v[68:69], v[8:9]
	v_mul_f64 v[8:9], v[18:19], v[68:69]
	;; [unrolled: 10-line block ×8, first 2 shown]
	v_fma_f64 v[100:101], v[16:17], v[102:103], -v[8:9]
	s_clause 0x3
	buffer_load_dword v16, off, s[28:31], 0 offset:1044
	buffer_load_dword v17, off, s[28:31], 0 offset:1048
	buffer_load_dword v18, off, s[28:31], 0 offset:1052
	buffer_load_dword v19, off, s[28:31], 0 offset:1056
	s_waitcnt vmcnt(0) lgkmcnt(0)
	s_barrier
	buffer_gl0_inv
	v_mul_f64 v[8:9], v[18:19], v[110:111]
	v_fma_f64 v[102:103], v[16:17], v[108:109], v[8:9]
	v_mul_f64 v[8:9], v[18:19], v[108:109]
	v_fma_f64 v[108:109], v[16:17], v[110:111], -v[8:9]
	v_mul_f64 v[8:9], v[250:251], v[114:115]
	v_add_f64 v[16:17], v[10:11], -v[12:13]
	v_fma_f64 v[110:111], v[248:249], v[112:113], v[8:9]
	v_mul_f64 v[8:9], v[250:251], v[112:113]
	v_fma_f64 v[112:113], v[248:249], v[114:115], -v[8:9]
	v_mul_f64 v[8:9], v[254:255], v[118:119]
	v_fma_f64 v[114:115], v[252:253], v[116:117], v[8:9]
	v_mul_f64 v[8:9], v[254:255], v[116:117]
	v_fma_f64 v[116:117], v[252:253], v[118:119], -v[8:9]
	v_add_f64 v[8:9], v[0:1], v[121:122]
	v_fma_f64 v[252:253], v[60:61], s[2:3], v[26:27]
	v_add_f64 v[20:21], v[8:9], v[123:124]
	v_add_f64 v[8:9], v[121:122], v[123:124]
	v_fma_f64 v[0:1], v[8:9], -0.5, v[0:1]
	v_fma_f64 v[8:9], v[16:17], s[4:5], v[0:1]
	v_fma_f64 v[16:17], v[16:17], s[2:3], v[0:1]
	v_add_f64 v[0:1], v[2:3], v[10:11]
	v_add_f64 v[22:23], v[0:1], v[12:13]
	;; [unrolled: 1-line block ×3, first 2 shown]
	v_add_f64 v[12:13], v[125:126], -v[129:130]
	v_fma_f64 v[0:1], v[0:1], -0.5, v[2:3]
	v_add_f64 v[2:3], v[121:122], -v[123:124]
	v_fma_f64 v[10:11], v[2:3], s[2:3], v[0:1]
	v_fma_f64 v[18:19], v[2:3], s[4:5], v[0:1]
	v_add_f64 v[2:3], v[14:15], v[127:128]
	v_add_f64 v[0:1], v[4:5], v[14:15]
	v_add_f64 v[14:15], v[14:15], -v[127:128]
	v_fma_f64 v[2:3], v[2:3], -0.5, v[4:5]
	v_add_f64 v[0:1], v[0:1], v[127:128]
	v_fma_f64 v[4:5], v[12:13], s[4:5], v[2:3]
	v_fma_f64 v[12:13], v[12:13], s[2:3], v[2:3]
	v_add_f64 v[2:3], v[6:7], v[125:126]
	v_fma_f64 v[6:7], v[14:15], s[2:3], v[24:25]
	v_fma_f64 v[14:15], v[14:15], s[4:5], v[24:25]
	v_add_f64 v[24:25], v[28:29], v[131:132]
	v_fma_f64 v[28:29], v[60:61], s[4:5], v[26:27]
	v_add_f64 v[26:27], v[30:31], v[133:134]
	v_add_f64 v[60:61], v[131:132], -v[135:136]
	v_add_f64 v[2:3], v[2:3], v[129:130]
	v_add_f64 v[24:25], v[24:25], v[135:136]
	v_add_f64 v[26:27], v[26:27], v[48:49]
	v_add_f64 v[48:49], v[133:134], v[48:49]
	v_fma_f64 v[48:49], v[48:49], -0.5, v[30:31]
	v_fma_f64 v[30:31], v[60:61], s[2:3], v[48:49]
	v_fma_f64 v[254:255], v[60:61], s[4:5], v[48:49]
	v_add_f64 v[48:49], v[44:45], v[50:51]
	v_add_f64 v[248:249], v[48:49], v[54:55]
	v_add_f64 v[48:49], v[50:51], v[54:55]
	v_fma_f64 v[44:45], v[48:49], -0.5, v[44:45]
	v_add_f64 v[48:49], v[52:53], -v[56:57]
	v_fma_f64 v[76:77], v[48:49], s[4:5], v[44:45]
	v_fma_f64 v[72:73], v[48:49], s[2:3], v[44:45]
	v_add_f64 v[44:45], v[46:47], v[52:53]
	v_add_f64 v[250:251], v[44:45], v[56:57]
	v_add_f64 v[44:45], v[52:53], v[56:57]
	v_fma_f64 v[44:45], v[44:45], -0.5, v[46:47]
	v_add_f64 v[46:47], v[50:51], -v[54:55]
	;; [unrolled: 7-line block ×7, first 2 shown]
	v_fma_f64 v[40:41], v[36:37], s[4:5], v[32:33]
	v_fma_f64 v[36:37], v[36:37], s[2:3], v[32:33]
	v_add_f64 v[32:33], v[34:35], v[149:150]
	v_add_f64 v[46:47], v[32:33], v[84:85]
	;; [unrolled: 1-line block ×3, first 2 shown]
	v_add_f64 v[84:85], v[88:89], -v[96:97]
	v_fma_f64 v[32:33], v[32:33], -0.5, v[34:35]
	v_add_f64 v[34:35], v[147:148], -v[151:152]
	v_fma_f64 v[42:43], v[34:35], s[2:3], v[32:33]
	v_fma_f64 v[38:39], v[34:35], s[4:5], v[32:33]
	v_add_f64 v[34:35], v[86:87], v[90:91]
	v_add_f64 v[32:33], v[80:81], v[86:87]
	v_add_f64 v[86:87], v[86:87], -v[90:91]
	v_fma_f64 v[34:35], v[34:35], -0.5, v[80:81]
	v_add_f64 v[32:33], v[32:33], v[90:91]
	v_add_f64 v[90:91], v[98:99], v[102:103]
	v_fma_f64 v[80:81], v[84:85], s[4:5], v[34:35]
	v_fma_f64 v[84:85], v[84:85], s[2:3], v[34:35]
	v_add_f64 v[34:35], v[82:83], v[88:89]
	v_add_f64 v[88:89], v[88:89], v[96:97]
	v_fma_f64 v[90:91], v[90:91], -0.5, v[92:93]
	v_add_f64 v[34:35], v[34:35], v[96:97]
	v_fma_f64 v[88:89], v[88:89], -0.5, v[82:83]
	v_add_f64 v[96:97], v[100:101], -v[108:109]
	v_fma_f64 v[82:83], v[86:87], s[2:3], v[88:89]
	v_fma_f64 v[86:87], v[86:87], s[4:5], v[88:89]
	v_add_f64 v[88:89], v[92:93], v[98:99]
	v_fma_f64 v[92:93], v[96:97], s[4:5], v[90:91]
	v_fma_f64 v[96:97], v[96:97], s[2:3], v[90:91]
	v_add_f64 v[90:91], v[94:95], v[100:101]
	v_add_f64 v[100:101], v[100:101], v[108:109]
	v_add_f64 v[98:99], v[98:99], -v[102:103]
	v_add_f64 v[88:89], v[88:89], v[102:103]
	v_add_f64 v[102:103], v[110:111], v[114:115]
	;; [unrolled: 1-line block ×3, first 2 shown]
	v_fma_f64 v[100:101], v[100:101], -0.5, v[94:95]
	v_add_f64 v[108:109], v[112:113], -v[116:117]
	v_fma_f64 v[102:103], v[102:103], -0.5, v[104:105]
	v_fma_f64 v[94:95], v[98:99], s[2:3], v[100:101]
	v_fma_f64 v[98:99], v[98:99], s[4:5], v[100:101]
	v_add_f64 v[100:101], v[104:105], v[110:111]
	v_add_f64 v[110:111], v[110:111], -v[114:115]
	v_fma_f64 v[104:105], v[108:109], s[4:5], v[102:103]
	v_fma_f64 v[108:109], v[108:109], s[2:3], v[102:103]
	v_add_f64 v[102:103], v[106:107], v[112:113]
	v_add_f64 v[112:113], v[112:113], v[116:117]
	;; [unrolled: 1-line block ×4, first 2 shown]
	v_fma_f64 v[112:113], v[112:113], -0.5, v[106:107]
	v_fma_f64 v[106:107], v[110:111], s[2:3], v[112:113]
	v_fma_f64 v[110:111], v[110:111], s[4:5], v[112:113]
	buffer_load_dword v112, off, s[28:31], 0 offset:1128 ; 4-byte Folded Reload
	s_waitcnt vmcnt(0)
	ds_write_b128 v112, v[20:23]
	ds_write_b128 v112, v[8:11] offset:48
	ds_write_b128 v112, v[16:19] offset:96
	buffer_load_dword v8, off, s[28:31], 0 offset:1124 ; 4-byte Folded Reload
	s_waitcnt vmcnt(0)
	ds_write_b128 v8, v[0:3]
	ds_write_b128 v8, v[4:7] offset:48
	ds_write_b128 v8, v[12:15] offset:96
	;; [unrolled: 5-line block ×10, first 2 shown]
	s_waitcnt lgkmcnt(0)
	s_barrier
	buffer_gl0_inv
	ds_read_b128 v[4:7], v120
	ds_read_b128 v[8:11], v120 offset:5184
	ds_read_b128 v[12:15], v120 offset:10368
	;; [unrolled: 1-line block ×29, first 2 shown]
	s_clause 0x3
	buffer_load_dword v106, off, s[28:31], 0 offset:672
	buffer_load_dword v107, off, s[28:31], 0 offset:676
	;; [unrolled: 1-line block ×4, first 2 shown]
	s_waitcnt vmcnt(0) lgkmcnt(28)
	v_mul_f64 v[40:41], v[108:109], v[10:11]
	v_fma_f64 v[66:67], v[106:107], v[8:9], v[40:41]
	v_mul_f64 v[8:9], v[108:109], v[8:9]
	s_waitcnt lgkmcnt(8)
	v_mul_f64 v[40:41], v[218:219], v[94:95]
	v_fma_f64 v[42:43], v[106:107], v[10:11], -v[8:9]
	s_clause 0x3
	buffer_load_dword v106, off, s[28:31], 0 offset:688
	buffer_load_dword v107, off, s[28:31], 0 offset:692
	;; [unrolled: 1-line block ×4, first 2 shown]
	s_waitcnt vmcnt(0)
	v_mul_f64 v[8:9], v[108:109], v[14:15]
	v_fma_f64 v[137:138], v[106:107], v[12:13], v[8:9]
	v_mul_f64 v[8:9], v[108:109], v[12:13]
	s_clause 0x3
	buffer_load_dword v10, off, s[28:31], 0 offset:704
	buffer_load_dword v11, off, s[28:31], 0 offset:708
	;; [unrolled: 1-line block ×4, first 2 shown]
	v_fma_f64 v[139:140], v[106:107], v[14:15], -v[8:9]
	s_waitcnt vmcnt(0)
	v_mul_f64 v[8:9], v[12:13], v[18:19]
	v_fma_f64 v[141:142], v[10:11], v[16:17], v[8:9]
	v_mul_f64 v[8:9], v[12:13], v[16:17]
	v_fma_f64 v[48:49], v[10:11], v[18:19], -v[8:9]
	s_clause 0x3
	buffer_load_dword v10, off, s[28:31], 0 offset:720
	buffer_load_dword v11, off, s[28:31], 0 offset:724
	buffer_load_dword v12, off, s[28:31], 0 offset:728
	buffer_load_dword v13, off, s[28:31], 0 offset:732
	s_waitcnt vmcnt(0)
	v_mul_f64 v[8:9], v[12:13], v[22:23]
	v_fma_f64 v[143:144], v[10:11], v[20:21], v[8:9]
	v_mul_f64 v[8:9], v[12:13], v[20:21]
	v_fma_f64 v[145:146], v[10:11], v[22:23], -v[8:9]
	s_clause 0x3
	buffer_load_dword v10, off, s[28:31], 0 offset:740
	buffer_load_dword v11, off, s[28:31], 0 offset:744
	buffer_load_dword v12, off, s[28:31], 0 offset:748
	buffer_load_dword v13, off, s[28:31], 0 offset:752
	;; [unrolled: 10-line block ×7, first 2 shown]
	s_waitcnt vmcnt(0)
	v_mul_f64 v[8:9], v[12:13], v[52:53]
	v_fma_f64 v[16:17], v[10:11], v[50:51], v[8:9]
	v_mul_f64 v[8:9], v[12:13], v[50:51]
	s_clause 0x7
	buffer_load_dword v12, off, s[28:31], 0 offset:944
	buffer_load_dword v13, off, s[28:31], 0 offset:948
	;; [unrolled: 1-line block ×8, first 2 shown]
	v_add_f64 v[50:51], v[139:140], -v[250:251]
	v_fma_f64 v[8:9], v[10:11], v[52:53], -v[8:9]
	v_add_f64 v[52:53], v[145:146], -v[153:154]
	s_waitcnt vmcnt(4)
	v_mul_f64 v[10:11], v[14:15], v[56:57]
	v_fma_f64 v[30:31], v[12:13], v[54:55], v[10:11]
	v_mul_f64 v[10:11], v[14:15], v[54:55]
	v_add_f64 v[54:55], v[137:138], -v[143:144]
	v_fma_f64 v[26:27], v[12:13], v[56:57], -v[10:11]
	s_waitcnt vmcnt(0)
	v_mul_f64 v[10:11], v[20:21], v[60:61]
	v_add_f64 v[56:57], v[248:249], -v[151:152]
	v_fma_f64 v[12:13], v[18:19], v[58:59], v[10:11]
	v_mul_f64 v[10:11], v[20:21], v[58:59]
	v_add_f64 v[54:55], v[54:55], v[56:57]
	v_add_f64 v[56:57], v[143:144], -v[137:138]
	v_add_f64 v[58:59], v[151:152], -v[248:249]
	v_fma_f64 v[10:11], v[18:19], v[60:61], -v[10:11]
	s_clause 0x3
	buffer_load_dword v18, off, s[28:31], 0 offset:928
	buffer_load_dword v19, off, s[28:31], 0 offset:932
	;; [unrolled: 1-line block ×4, first 2 shown]
	v_add_f64 v[60:61], v[143:144], -v[151:152]
	v_add_f64 v[56:57], v[56:57], v[58:59]
	s_waitcnt vmcnt(0)
	v_mul_f64 v[14:15], v[20:21], v[64:65]
	v_fma_f64 v[34:35], v[18:19], v[62:63], v[14:15]
	v_mul_f64 v[14:15], v[20:21], v[62:63]
	s_clause 0x3
	buffer_load_dword v20, off, s[28:31], 0 offset:1060
	buffer_load_dword v21, off, s[28:31], 0 offset:1064
	;; [unrolled: 1-line block ×4, first 2 shown]
	v_add_f64 v[62:63], v[250:251], -v[153:154]
	v_fma_f64 v[32:33], v[18:19], v[64:65], -v[14:15]
	v_add_f64 v[64:65], v[153:154], -v[250:251]
	s_waitcnt vmcnt(0)
	v_mul_f64 v[14:15], v[22:23], v[74:75]
	v_fma_f64 v[18:19], v[20:21], v[72:73], v[14:15]
	v_mul_f64 v[14:15], v[22:23], v[72:73]
	s_clause 0x7
	buffer_load_dword v22, off, s[28:31], 0 offset:1092
	buffer_load_dword v23, off, s[28:31], 0 offset:1096
	;; [unrolled: 1-line block ×8, first 2 shown]
	v_fma_f64 v[14:15], v[20:21], v[74:75], -v[14:15]
	s_waitcnt vmcnt(4)
	v_mul_f64 v[20:21], v[24:25], v[78:79]
	v_fma_f64 v[38:39], v[22:23], v[76:77], v[20:21]
	v_mul_f64 v[20:21], v[24:25], v[76:77]
	v_fma_f64 v[36:37], v[22:23], v[78:79], -v[20:21]
	s_waitcnt vmcnt(0)
	v_mul_f64 v[20:21], v[46:47], v[82:83]
	v_fma_f64 v[22:23], v[44:45], v[80:81], v[20:21]
	v_mul_f64 v[20:21], v[46:47], v[80:81]
	v_fma_f64 v[80:81], v[216:217], v[92:93], v[40:41]
	v_mul_f64 v[40:41], v[218:219], v[92:93]
	v_fma_f64 v[20:21], v[44:45], v[82:83], -v[20:21]
	s_clause 0x3
	buffer_load_dword v44, off, s[28:31], 0 offset:1076
	buffer_load_dword v45, off, s[28:31], 0 offset:1080
	;; [unrolled: 1-line block ×4, first 2 shown]
	v_fma_f64 v[72:73], v[216:217], v[94:95], -v[40:41]
	s_waitcnt lgkmcnt(7)
	v_mul_f64 v[40:41], v[230:231], v[100:101]
	s_waitcnt vmcnt(0) lgkmcnt(0)
	s_barrier
	buffer_gl0_inv
	v_fma_f64 v[96:97], v[228:229], v[98:99], v[40:41]
	v_mul_f64 v[40:41], v[230:231], v[98:99]
	v_fma_f64 v[92:93], v[228:229], v[100:101], -v[40:41]
	v_mul_f64 v[40:41], v[234:235], v[104:105]
	v_fma_f64 v[78:79], v[232:233], v[102:103], v[40:41]
	v_mul_f64 v[40:41], v[234:235], v[102:103]
	v_fma_f64 v[74:75], v[232:233], v[104:105], -v[40:41]
	v_mul_f64 v[40:41], v[238:239], v[114:115]
	;; [unrolled: 4-line block ×3, first 2 shown]
	v_add_f64 v[114:115], v[149:150], -v[157:158]
	v_mul_f64 v[24:25], v[46:47], v[86:87]
	v_fma_f64 v[110:111], v[44:45], v[84:85], v[24:25]
	v_mul_f64 v[24:25], v[46:47], v[84:85]
	v_fma_f64 v[84:85], v[192:193], v[116:117], v[40:41]
	v_mul_f64 v[40:41], v[194:195], v[116:117]
	v_add_f64 v[116:117], v[141:142], -v[147:148]
	v_fma_f64 v[108:109], v[44:45], v[86:87], -v[24:25]
	v_add_f64 v[44:45], v[143:144], v[151:152]
	v_fma_f64 v[76:77], v[192:193], v[118:119], -v[40:41]
	v_mul_f64 v[40:41], v[202:203], v[123:124]
	v_mul_f64 v[24:25], v[246:247], v[90:91]
	v_add_f64 v[118:119], v[252:253], -v[155:156]
	v_fma_f64 v[46:47], v[44:45], -0.5, v[4:5]
	v_fma_f64 v[104:105], v[200:201], v[121:122], v[40:41]
	v_mul_f64 v[40:41], v[202:203], v[121:122]
	v_fma_f64 v[28:29], v[244:245], v[88:89], v[24:25]
	v_mul_f64 v[24:25], v[246:247], v[88:89]
	v_add_f64 v[116:117], v[116:117], v[118:119]
	v_add_f64 v[121:122], v[155:156], -v[252:253]
	v_fma_f64 v[44:45], v[50:51], s[16:17], v[46:47]
	v_fma_f64 v[46:47], v[50:51], s[6:7], v[46:47]
	v_fma_f64 v[98:99], v[200:201], v[123:124], -v[40:41]
	v_mul_f64 v[40:41], v[206:207], v[127:128]
	v_fma_f64 v[24:25], v[244:245], v[90:91], -v[24:25]
	v_add_f64 v[123:124], v[147:148], -v[155:156]
	v_fma_f64 v[44:45], v[52:53], s[18:19], v[44:45]
	v_fma_f64 v[46:47], v[52:53], s[8:9], v[46:47]
	;; [unrolled: 1-line block ×3, first 2 shown]
	v_mul_f64 v[40:41], v[206:207], v[125:126]
	v_add_f64 v[125:126], v[48:49], -v[149:150]
	v_fma_f64 v[44:45], v[54:55], s[14:15], v[44:45]
	v_fma_f64 v[54:55], v[54:55], s[14:15], v[46:47]
	v_add_f64 v[46:47], v[137:138], v[248:249]
	v_fma_f64 v[82:83], v[204:205], v[127:128], -v[40:41]
	v_mul_f64 v[40:41], v[210:211], v[131:132]
	v_add_f64 v[127:128], v[254:255], -v[157:158]
	v_fma_f64 v[106:107], v[208:209], v[129:130], v[40:41]
	v_mul_f64 v[40:41], v[210:211], v[129:130]
	v_add_f64 v[125:126], v[125:126], v[127:128]
	v_fma_f64 v[102:103], v[208:209], v[131:132], -v[40:41]
	v_mul_f64 v[40:41], v[182:183], v[135:136]
	v_fma_f64 v[90:91], v[180:181], v[133:134], v[40:41]
	v_mul_f64 v[40:41], v[182:183], v[133:134]
	v_fma_f64 v[88:89], v[180:181], v[135:136], -v[40:41]
	v_add_f64 v[40:41], v[4:5], v[137:138]
	v_fma_f64 v[4:5], v[46:47], -0.5, v[4:5]
	v_add_f64 v[40:41], v[40:41], v[143:144]
	v_fma_f64 v[46:47], v[52:53], s[6:7], v[4:5]
	v_fma_f64 v[4:5], v[52:53], s[16:17], v[4:5]
	v_add_f64 v[40:41], v[40:41], v[151:152]
	v_fma_f64 v[46:47], v[50:51], s[18:19], v[46:47]
	v_fma_f64 v[4:5], v[50:51], s[8:9], v[4:5]
	v_add_f64 v[50:51], v[139:140], -v[145:146]
	v_add_f64 v[40:41], v[40:41], v[248:249]
	v_fma_f64 v[58:59], v[56:57], s[14:15], v[46:47]
	v_fma_f64 v[52:53], v[56:57], s[14:15], v[4:5]
	v_add_f64 v[4:5], v[6:7], v[139:140]
	v_add_f64 v[56:57], v[137:138], -v[248:249]
	v_add_f64 v[50:51], v[50:51], v[62:63]
	v_add_f64 v[62:63], v[145:146], -v[139:140]
	v_add_f64 v[4:5], v[4:5], v[145:146]
	v_add_f64 v[62:63], v[62:63], v[64:65]
	;; [unrolled: 1-line block ×5, first 2 shown]
	v_fma_f64 v[4:5], v[4:5], -0.5, v[6:7]
	v_fma_f64 v[46:47], v[56:57], s[6:7], v[4:5]
	v_fma_f64 v[4:5], v[56:57], s[16:17], v[4:5]
	;; [unrolled: 1-line block ×6, first 2 shown]
	v_add_f64 v[50:51], v[139:140], v[250:251]
	v_fma_f64 v[6:7], v[50:51], -0.5, v[6:7]
	v_fma_f64 v[50:51], v[60:61], s[16:17], v[6:7]
	v_fma_f64 v[6:7], v[60:61], s[6:7], v[6:7]
	v_add_f64 v[60:61], v[147:148], v[155:156]
	v_fma_f64 v[50:51], v[56:57], s[8:9], v[50:51]
	v_fma_f64 v[6:7], v[56:57], s[18:19], v[6:7]
	v_fma_f64 v[60:61], v[60:61], -0.5, v[66:67]
	v_add_f64 v[56:57], v[66:67], v[141:142]
	v_fma_f64 v[50:51], v[62:63], s[14:15], v[50:51]
	v_fma_f64 v[6:7], v[62:63], s[14:15], v[6:7]
	v_add_f64 v[62:63], v[48:49], -v[254:255]
	v_add_f64 v[56:57], v[56:57], v[147:148]
	v_fma_f64 v[64:65], v[62:63], s[16:17], v[60:61]
	v_fma_f64 v[60:61], v[62:63], s[6:7], v[60:61]
	v_add_f64 v[56:57], v[56:57], v[155:156]
	v_fma_f64 v[64:65], v[114:115], s[18:19], v[64:65]
	v_fma_f64 v[60:61], v[114:115], s[8:9], v[60:61]
	;; [unrolled: 3-line block ×3, first 2 shown]
	v_add_f64 v[60:61], v[141:142], v[252:253]
	v_fma_f64 v[60:61], v[60:61], -0.5, v[66:67]
	v_add_f64 v[66:67], v[147:148], -v[141:142]
	v_fma_f64 v[64:65], v[114:115], s[6:7], v[60:61]
	v_fma_f64 v[60:61], v[114:115], s[16:17], v[60:61]
	v_add_f64 v[66:67], v[66:67], v[121:122]
	v_fma_f64 v[64:65], v[62:63], s[18:19], v[64:65]
	v_fma_f64 v[60:61], v[62:63], s[8:9], v[60:61]
	v_add_f64 v[62:63], v[141:142], -v[252:253]
	v_fma_f64 v[121:122], v[66:67], s[14:15], v[64:65]
	v_fma_f64 v[66:67], v[66:67], s[14:15], v[60:61]
	v_add_f64 v[60:61], v[42:43], v[48:49]
	v_add_f64 v[60:61], v[60:61], v[149:150]
	v_add_f64 v[60:61], v[60:61], v[157:158]
	v_add_f64 v[114:115], v[60:61], v[254:255]
	v_add_f64 v[60:61], v[149:150], v[157:158]
	v_fma_f64 v[60:61], v[60:61], -0.5, v[42:43]
	v_fma_f64 v[64:65], v[62:63], s[6:7], v[60:61]
	v_fma_f64 v[60:61], v[62:63], s[16:17], v[60:61]
	;; [unrolled: 1-line block ×6, first 2 shown]
	v_add_f64 v[60:61], v[48:49], v[254:255]
	v_add_f64 v[48:49], v[149:150], -v[48:49]
	v_add_f64 v[64:65], v[157:158], -v[254:255]
	v_fma_f64 v[42:43], v[60:61], -0.5, v[42:43]
	v_add_f64 v[48:49], v[48:49], v[64:65]
	v_fma_f64 v[60:61], v[123:124], s[16:17], v[42:43]
	v_fma_f64 v[42:43], v[123:124], s[6:7], v[42:43]
	;; [unrolled: 1-line block ×6, first 2 shown]
	v_mul_f64 v[48:49], v[127:128], s[18:19]
	v_mul_f64 v[127:128], v[127:128], s[20:21]
	v_add_f64 v[60:61], v[40:41], v[56:57]
	v_add_f64 v[40:41], v[40:41], -v[56:57]
	v_mul_f64 v[62:63], v[129:130], s[16:17]
	v_fma_f64 v[48:49], v[118:119], s[20:21], v[48:49]
	v_fma_f64 v[118:119], v[118:119], s[8:9], v[127:128]
	v_mul_f64 v[127:128], v[129:130], s[14:15]
	v_fma_f64 v[123:124], v[121:122], s[14:15], v[62:63]
	v_mul_f64 v[62:63], v[42:43], s[16:17]
	v_mul_f64 v[42:43], v[42:43], s[22:23]
	v_add_f64 v[252:253], v[44:45], v[48:49]
	v_fma_f64 v[121:122], v[121:122], s[6:7], v[127:128]
	v_add_f64 v[44:45], v[44:45], -v[48:49]
	v_add_f64 v[254:255], v[46:47], v[118:119]
	v_add_f64 v[46:47], v[46:47], -v[118:119]
	v_add_f64 v[118:119], v[30:31], -v[34:35]
	v_add_f64 v[248:249], v[58:59], v[123:124]
	v_fma_f64 v[131:132], v[66:67], s[22:23], v[62:63]
	v_mul_f64 v[62:63], v[125:126], s[18:19]
	v_fma_f64 v[127:128], v[66:67], s[6:7], v[42:43]
	v_mul_f64 v[42:43], v[125:126], s[24:25]
	v_add_f64 v[48:49], v[58:59], -v[123:124]
	v_add_f64 v[250:251], v[50:51], v[121:122]
	v_add_f64 v[50:51], v[50:51], -v[121:122]
	v_add_f64 v[121:122], v[110:111], -v[38:39]
	;; [unrolled: 1-line block ×3, first 2 shown]
	v_add_f64 v[244:245], v[52:53], v[131:132]
	v_fma_f64 v[133:134], v[116:117], s[24:25], v[62:63]
	v_add_f64 v[62:63], v[112:113], v[114:115]
	v_fma_f64 v[116:117], v[116:117], s[8:9], v[42:43]
	v_add_f64 v[42:43], v[112:113], -v[114:115]
	v_add_f64 v[246:247], v[6:7], v[127:128]
	v_add_f64 v[52:53], v[52:53], -v[131:132]
	v_add_f64 v[118:119], v[118:119], v[121:122]
	v_add_f64 v[121:122], v[34:35], -v[30:31]
	v_add_f64 v[64:65], v[54:55], v[133:134]
	v_add_f64 v[56:57], v[54:55], -v[133:134]
	v_add_f64 v[66:67], v[4:5], v[116:117]
	v_add_f64 v[58:59], v[4:5], -v[116:117]
	v_add_f64 v[4:5], v[0:1], v[30:31]
	v_add_f64 v[54:55], v[6:7], -v[127:128]
	v_add_f64 v[6:7], v[26:27], -v[108:109]
	;; [unrolled: 1-line block ×3, first 2 shown]
	v_add_f64 v[121:122], v[121:122], v[123:124]
	v_add_f64 v[4:5], v[4:5], v[34:35]
	;; [unrolled: 1-line block ×5, first 2 shown]
	v_fma_f64 v[4:5], v[4:5], -0.5, v[0:1]
	v_fma_f64 v[114:115], v[6:7], s[16:17], v[4:5]
	v_fma_f64 v[4:5], v[6:7], s[6:7], v[4:5]
	v_fma_f64 v[114:115], v[116:117], s[18:19], v[114:115]
	v_fma_f64 v[4:5], v[116:117], s[8:9], v[4:5]
	v_fma_f64 v[114:115], v[118:119], s[14:15], v[114:115]
	v_fma_f64 v[118:119], v[118:119], s[14:15], v[4:5]
	v_add_f64 v[4:5], v[30:31], v[110:111]
	v_fma_f64 v[0:1], v[4:5], -0.5, v[0:1]
	v_fma_f64 v[4:5], v[116:117], s[6:7], v[0:1]
	v_fma_f64 v[0:1], v[116:117], s[16:17], v[0:1]
	;; [unrolled: 1-line block ×6, first 2 shown]
	v_add_f64 v[0:1], v[2:3], v[26:27]
	v_add_f64 v[4:5], v[30:31], -v[110:111]
	v_add_f64 v[30:31], v[34:35], -v[38:39]
	;; [unrolled: 1-line block ×4, first 2 shown]
	v_add_f64 v[0:1], v[0:1], v[32:33]
	v_add_f64 v[34:35], v[34:35], v[38:39]
	;; [unrolled: 1-line block ×5, first 2 shown]
	v_fma_f64 v[0:1], v[0:1], -0.5, v[2:3]
	v_fma_f64 v[6:7], v[4:5], s[6:7], v[0:1]
	v_fma_f64 v[0:1], v[4:5], s[16:17], v[0:1]
	;; [unrolled: 1-line block ×6, first 2 shown]
	v_add_f64 v[0:1], v[26:27], v[108:109]
	v_add_f64 v[6:7], v[32:33], -v[26:27]
	v_add_f64 v[26:27], v[36:37], -v[108:109]
	;; [unrolled: 1-line block ×5, first 2 shown]
	v_fma_f64 v[0:1], v[0:1], -0.5, v[2:3]
	v_add_f64 v[6:7], v[6:7], v[26:27]
	v_add_f64 v[32:33], v[32:33], v[36:37]
	v_fma_f64 v[2:3], v[30:31], s[16:17], v[0:1]
	v_fma_f64 v[0:1], v[30:31], s[6:7], v[0:1]
	v_add_f64 v[30:31], v[14:15], -v[20:21]
	v_fma_f64 v[2:3], v[4:5], s[8:9], v[2:3]
	v_fma_f64 v[0:1], v[4:5], s[18:19], v[0:1]
	v_add_f64 v[4:5], v[10:11], -v[24:25]
	v_fma_f64 v[26:27], v[6:7], s[14:15], v[2:3]
	v_add_f64 v[2:3], v[18:19], v[22:23]
	v_fma_f64 v[34:35], v[6:7], s[14:15], v[0:1]
	v_add_f64 v[0:1], v[16:17], v[12:13]
	v_fma_f64 v[2:3], v[2:3], -0.5, v[16:17]
	v_add_f64 v[0:1], v[0:1], v[18:19]
	v_fma_f64 v[6:7], v[4:5], s[16:17], v[2:3]
	v_fma_f64 v[2:3], v[4:5], s[6:7], v[2:3]
	v_add_f64 v[0:1], v[0:1], v[22:23]
	v_fma_f64 v[6:7], v[30:31], s[18:19], v[6:7]
	v_fma_f64 v[2:3], v[30:31], s[8:9], v[2:3]
	v_add_f64 v[0:1], v[0:1], v[28:29]
	v_fma_f64 v[36:37], v[32:33], s[14:15], v[6:7]
	v_add_f64 v[6:7], v[12:13], v[28:29]
	v_fma_f64 v[2:3], v[32:33], s[14:15], v[2:3]
	v_add_f64 v[32:33], v[18:19], -v[12:13]
	v_fma_f64 v[6:7], v[6:7], -0.5, v[16:17]
	v_add_f64 v[32:33], v[32:33], v[108:109]
	v_fma_f64 v[16:17], v[30:31], s[6:7], v[6:7]
	v_fma_f64 v[6:7], v[30:31], s[16:17], v[6:7]
	;; [unrolled: 1-line block ×4, first 2 shown]
	v_add_f64 v[6:7], v[12:13], -v[28:29]
	v_fma_f64 v[108:109], v[32:33], s[14:15], v[16:17]
	v_fma_f64 v[30:31], v[32:33], s[14:15], v[4:5]
	v_add_f64 v[4:5], v[8:9], v[10:11]
	v_add_f64 v[16:17], v[18:19], -v[22:23]
	v_add_f64 v[18:19], v[10:11], -v[14:15]
	;; [unrolled: 1-line block ×3, first 2 shown]
	v_add_f64 v[4:5], v[4:5], v[14:15]
	v_add_f64 v[18:19], v[18:19], v[22:23]
	;; [unrolled: 1-line block ×5, first 2 shown]
	v_fma_f64 v[4:5], v[4:5], -0.5, v[8:9]
	v_fma_f64 v[12:13], v[6:7], s[6:7], v[4:5]
	v_fma_f64 v[4:5], v[6:7], s[16:17], v[4:5]
	;; [unrolled: 1-line block ×6, first 2 shown]
	v_add_f64 v[4:5], v[10:11], v[24:25]
	v_add_f64 v[10:11], v[14:15], -v[10:11]
	v_add_f64 v[14:15], v[20:21], -v[24:25]
	v_fma_f64 v[4:5], v[4:5], -0.5, v[8:9]
	v_add_f64 v[10:11], v[10:11], v[14:15]
	v_fma_f64 v[8:9], v[16:17], s[16:17], v[4:5]
	v_fma_f64 v[4:5], v[16:17], s[6:7], v[4:5]
	;; [unrolled: 1-line block ×4, first 2 shown]
	v_mul_f64 v[6:7], v[12:13], s[18:19]
	v_fma_f64 v[14:15], v[10:11], s[14:15], v[8:9]
	v_fma_f64 v[22:23], v[10:11], s[14:15], v[4:5]
	;; [unrolled: 1-line block ×3, first 2 shown]
	v_mul_f64 v[10:11], v[12:13], s[20:21]
	v_add_f64 v[4:5], v[112:113], v[0:1]
	v_add_f64 v[0:1], v[112:113], -v[0:1]
	v_add_f64 v[112:113], v[92:93], -v[102:103]
	v_mul_f64 v[6:7], v[14:15], s[16:17]
	v_mul_f64 v[12:13], v[14:15], s[14:15]
	v_add_f64 v[8:9], v[114:115], v[24:25]
	v_fma_f64 v[133:134], v[36:37], s[8:9], v[10:11]
	v_fma_f64 v[127:128], v[108:109], s[14:15], v[6:7]
	v_fma_f64 v[108:109], v[108:109], s[6:7], v[12:13]
	v_mul_f64 v[12:13], v[22:23], s[22:23]
	v_mul_f64 v[6:7], v[22:23], s[16:17]
	v_add_f64 v[10:11], v[38:39], v[133:134]
	v_add_f64 v[14:15], v[38:39], -v[133:134]
	v_add_f64 v[16:17], v[123:124], v[127:128]
	v_add_f64 v[18:19], v[26:27], v[108:109]
	v_fma_f64 v[135:136], v[30:31], s[6:7], v[12:13]
	v_mul_f64 v[12:13], v[32:33], s[24:25]
	v_fma_f64 v[129:130], v[30:31], s[22:23], v[6:7]
	v_mul_f64 v[6:7], v[32:33], s[18:19]
	v_add_f64 v[26:27], v[26:27], -v[108:109]
	v_add_f64 v[108:109], v[68:69], v[96:97]
	v_add_f64 v[22:23], v[34:35], v[135:136]
	v_fma_f64 v[137:138], v[2:3], s[8:9], v[12:13]
	v_add_f64 v[20:21], v[116:117], v[129:130]
	v_fma_f64 v[131:132], v[2:3], s[24:25], v[6:7]
	v_add_f64 v[6:7], v[121:122], v[125:126]
	v_add_f64 v[12:13], v[114:115], -v[24:25]
	v_add_f64 v[32:33], v[116:117], -v[129:130]
	;; [unrolled: 1-line block ×5, first 2 shown]
	v_add_f64 v[108:109], v[108:109], v[100:101]
	v_add_f64 v[24:25], v[123:124], -v[127:128]
	v_add_f64 v[123:124], v[104:105], -v[106:107]
	;; [unrolled: 1-line block ×3, first 2 shown]
	v_add_f64 v[30:31], v[110:111], v[137:138]
	v_add_f64 v[38:39], v[110:111], -v[137:138]
	v_add_f64 v[110:111], v[100:101], v[104:105]
	v_add_f64 v[28:29], v[118:119], v[131:132]
	v_add_f64 v[36:37], v[118:119], -v[131:132]
	v_add_f64 v[118:119], v[96:97], -v[100:101]
	v_add_f64 v[108:109], v[108:109], v[104:105]
	v_fma_f64 v[110:111], v[110:111], -0.5, v[68:69]
	v_add_f64 v[118:119], v[118:119], v[121:122]
	v_add_f64 v[121:122], v[100:101], -v[96:97]
	v_add_f64 v[100:101], v[100:101], -v[104:105]
	v_add_f64 v[108:109], v[108:109], v[106:107]
	v_fma_f64 v[114:115], v[112:113], s[16:17], v[110:111]
	v_fma_f64 v[110:111], v[112:113], s[6:7], v[110:111]
	v_add_f64 v[121:122], v[121:122], v[123:124]
	v_add_f64 v[123:124], v[86:87], -v[90:91]
	v_fma_f64 v[114:115], v[116:117], s[18:19], v[114:115]
	v_fma_f64 v[110:111], v[116:117], s[8:9], v[110:111]
	;; [unrolled: 1-line block ×4, first 2 shown]
	v_add_f64 v[118:119], v[96:97], v[106:107]
	v_add_f64 v[96:97], v[96:97], -v[106:107]
	v_fma_f64 v[68:69], v[118:119], -0.5, v[68:69]
	v_fma_f64 v[118:119], v[116:117], s[6:7], v[68:69]
	v_fma_f64 v[68:69], v[116:117], s[16:17], v[68:69]
	v_add_f64 v[116:117], v[94:95], v[98:99]
	v_fma_f64 v[118:119], v[112:113], s[18:19], v[118:119]
	v_fma_f64 v[68:69], v[112:113], s[8:9], v[68:69]
	v_fma_f64 v[116:117], v[116:117], -0.5, v[70:71]
	v_add_f64 v[112:113], v[70:71], v[92:93]
	v_fma_f64 v[118:119], v[121:122], s[14:15], v[118:119]
	v_fma_f64 v[68:69], v[121:122], s[14:15], v[68:69]
	;; [unrolled: 1-line block ×3, first 2 shown]
	v_add_f64 v[121:122], v[102:103], -v[98:99]
	v_fma_f64 v[116:117], v[96:97], s[16:17], v[116:117]
	v_add_f64 v[112:113], v[112:113], v[94:95]
	v_fma_f64 v[104:105], v[100:101], s[8:9], v[106:107]
	v_add_f64 v[106:107], v[92:93], -v[94:95]
	v_fma_f64 v[116:117], v[100:101], s[18:19], v[116:117]
	v_add_f64 v[112:113], v[112:113], v[98:99]
	v_add_f64 v[106:107], v[106:107], v[121:122]
	v_add_f64 v[121:122], v[90:91], -v[86:87]
	v_add_f64 v[112:113], v[112:113], v[102:103]
	v_fma_f64 v[104:105], v[106:107], s[14:15], v[104:105]
	v_fma_f64 v[106:107], v[106:107], s[14:15], v[116:117]
	v_add_f64 v[116:117], v[92:93], v[102:103]
	v_add_f64 v[92:93], v[94:95], -v[92:93]
	v_add_f64 v[94:95], v[98:99], -v[102:103]
	;; [unrolled: 1-line block ×4, first 2 shown]
	v_fma_f64 v[70:71], v[116:117], -0.5, v[70:71]
	v_add_f64 v[92:93], v[92:93], v[94:95]
	v_fma_f64 v[116:117], v[100:101], s[16:17], v[70:71]
	v_fma_f64 v[70:71], v[100:101], s[6:7], v[70:71]
	;; [unrolled: 1-line block ×4, first 2 shown]
	v_add_f64 v[96:97], v[84:85], v[86:87]
	v_fma_f64 v[94:95], v[92:93], s[14:15], v[116:117]
	v_add_f64 v[116:117], v[78:79], -v[84:85]
	v_fma_f64 v[96:97], v[96:97], -0.5, v[80:81]
	v_fma_f64 v[70:71], v[92:93], s[14:15], v[70:71]
	v_add_f64 v[92:93], v[80:81], v[78:79]
	v_add_f64 v[116:117], v[116:117], v[121:122]
	v_fma_f64 v[100:101], v[98:99], s[16:17], v[96:97]
	v_fma_f64 v[96:97], v[98:99], s[6:7], v[96:97]
	v_add_f64 v[92:93], v[92:93], v[84:85]
	v_add_f64 v[121:122], v[84:85], -v[78:79]
	v_add_f64 v[84:85], v[84:85], -v[86:87]
	v_fma_f64 v[100:101], v[102:103], s[18:19], v[100:101]
	v_fma_f64 v[96:97], v[102:103], s[8:9], v[96:97]
	v_add_f64 v[92:93], v[92:93], v[86:87]
	v_add_f64 v[121:122], v[121:122], v[123:124]
	v_fma_f64 v[100:101], v[116:117], s[14:15], v[100:101]
	v_fma_f64 v[96:97], v[116:117], s[14:15], v[96:97]
	v_add_f64 v[116:117], v[78:79], v[90:91]
	v_add_f64 v[78:79], v[78:79], -v[90:91]
	v_add_f64 v[92:93], v[92:93], v[90:91]
	v_fma_f64 v[80:81], v[116:117], -0.5, v[80:81]
	v_add_f64 v[232:233], v[108:109], v[92:93]
	v_add_f64 v[236:237], v[108:109], -v[92:93]
	v_fma_f64 v[116:117], v[102:103], s[6:7], v[80:81]
	v_fma_f64 v[80:81], v[102:103], s[16:17], v[80:81]
	v_add_f64 v[102:103], v[76:77], v[82:83]
	v_fma_f64 v[116:117], v[98:99], s[18:19], v[116:117]
	v_fma_f64 v[80:81], v[98:99], s[8:9], v[80:81]
	v_fma_f64 v[102:103], v[102:103], -0.5, v[72:73]
	v_add_f64 v[98:99], v[72:73], v[74:75]
	v_fma_f64 v[116:117], v[121:122], s[14:15], v[116:117]
	v_fma_f64 v[80:81], v[121:122], s[14:15], v[80:81]
	;; [unrolled: 1-line block ×3, first 2 shown]
	v_add_f64 v[121:122], v[88:89], -v[82:83]
	v_fma_f64 v[102:103], v[78:79], s[16:17], v[102:103]
	v_add_f64 v[98:99], v[98:99], v[76:77]
	v_fma_f64 v[86:87], v[84:85], s[8:9], v[90:91]
	v_add_f64 v[90:91], v[74:75], -v[76:77]
	v_fma_f64 v[102:103], v[84:85], s[18:19], v[102:103]
	v_add_f64 v[98:99], v[98:99], v[82:83]
	v_add_f64 v[90:91], v[90:91], v[121:122]
	;; [unrolled: 1-line block ×3, first 2 shown]
	v_fma_f64 v[86:87], v[90:91], s[14:15], v[86:87]
	v_fma_f64 v[90:91], v[90:91], s[14:15], v[102:103]
	v_add_f64 v[102:103], v[74:75], v[88:89]
	v_add_f64 v[74:75], v[76:77], -v[74:75]
	v_add_f64 v[76:77], v[82:83], -v[88:89]
	v_add_f64 v[234:235], v[112:113], v[98:99]
	v_add_f64 v[238:239], v[112:113], -v[98:99]
	v_fma_f64 v[72:73], v[102:103], -0.5, v[72:73]
	v_add_f64 v[74:75], v[74:75], v[76:77]
	v_fma_f64 v[102:103], v[84:85], s[16:17], v[72:73]
	v_fma_f64 v[72:73], v[84:85], s[6:7], v[72:73]
	v_mul_f64 v[84:85], v[90:91], s[18:19]
	v_fma_f64 v[102:103], v[78:79], s[8:9], v[102:103]
	v_fma_f64 v[72:73], v[78:79], s[18:19], v[72:73]
	;; [unrolled: 1-line block ×5, first 2 shown]
	v_mul_f64 v[74:75], v[86:87], s[18:19]
	v_mul_f64 v[86:87], v[86:87], s[20:21]
	v_add_f64 v[192:193], v[110:111], v[84:85]
	v_mul_f64 v[78:79], v[76:77], s[16:17]
	v_mul_f64 v[82:83], v[72:73], s[16:17]
	;; [unrolled: 1-line block ×4, first 2 shown]
	v_fma_f64 v[74:75], v[100:101], s[20:21], v[74:75]
	v_fma_f64 v[86:87], v[100:101], s[8:9], v[86:87]
	v_fma_f64 v[78:79], v[116:117], s[14:15], v[78:79]
	v_fma_f64 v[82:83], v[80:81], s[22:23], v[82:83]
	v_fma_f64 v[72:73], v[80:81], s[6:7], v[72:73]
	v_mul_f64 v[80:81], v[90:91], s[24:25]
	v_fma_f64 v[76:77], v[116:117], s[6:7], v[76:77]
	v_add_f64 v[228:229], v[114:115], v[74:75]
	v_add_f64 v[230:231], v[104:105], v[86:87]
	v_add_f64 v[216:217], v[114:115], -v[74:75]
	v_add_f64 v[218:219], v[104:105], -v[86:87]
	s_mul_hi_u32 s6, s0, 0xffff7fc0
	s_sub_i32 s6, s6, s0
	v_add_f64 v[208:209], v[118:119], v[78:79]
	v_add_f64 v[204:205], v[68:69], v[82:83]
	;; [unrolled: 1-line block ×3, first 2 shown]
	v_fma_f64 v[80:81], v[96:97], s[8:9], v[80:81]
	v_add_f64 v[180:181], v[68:69], -v[82:83]
	v_add_f64 v[68:69], v[110:111], -v[84:85]
	v_add_f64 v[182:183], v[70:71], -v[72:73]
	v_add_f64 v[210:211], v[94:95], v[76:77]
	v_add_f64 v[200:201], v[118:119], -v[78:79]
	v_add_f64 v[202:203], v[94:95], -v[76:77]
	v_add_f64 v[70:71], v[106:107], -v[80:81]
	v_add_f64 v[194:195], v[106:107], v[80:81]
	ds_write_b128 v160, v[60:63]
	ds_write_b128 v160, v[252:255] offset:144
	ds_write_b128 v160, v[248:251] offset:288
	ds_write_b128 v160, v[244:247] offset:432
	ds_write_b128 v160, v[64:67] offset:576
	ds_write_b128 v160, v[40:43] offset:720
	ds_write_b128 v160, v[44:47] offset:864
	ds_write_b128 v160, v[48:51] offset:1008
	ds_write_b128 v160, v[52:55] offset:1152
	ds_write_b128 v160, v[56:59] offset:1296
	ds_write_b128 v161, v[4:7]
	ds_write_b128 v161, v[8:11] offset:144
	ds_write_b128 v161, v[16:19] offset:288
	ds_write_b128 v161, v[20:23] offset:432
	ds_write_b128 v161, v[28:31] offset:576
	ds_write_b128 v161, v[0:3] offset:720
	ds_write_b128 v161, v[12:15] offset:864
	ds_write_b128 v161, v[24:27] offset:1008
	ds_write_b128 v161, v[32:35] offset:1152
	ds_write_b128 v161, v[36:39] offset:1296
	;; [unrolled: 10-line block ×3, first 2 shown]
	s_waitcnt lgkmcnt(0)
	s_barrier
	buffer_gl0_inv
	ds_read_b128 v[16:19], v120
	ds_read_b128 v[20:23], v120 offset:8640
	ds_read_b128 v[24:27], v120 offset:17280
	;; [unrolled: 1-line block ×29, first 2 shown]
	s_clause 0x3
	buffer_load_dword v123, off, s[28:31], 0 offset:1132
	buffer_load_dword v124, off, s[28:31], 0 offset:1136
	buffer_load_dword v125, off, s[28:31], 0 offset:1140
	buffer_load_dword v126, off, s[28:31], 0 offset:1144
	s_waitcnt vmcnt(0) lgkmcnt(28)
	v_mul_f64 v[121:122], v[125:126], v[22:23]
	v_fma_f64 v[121:122], v[123:124], v[20:21], v[121:122]
	v_mul_f64 v[20:21], v[125:126], v[20:21]
	v_fma_f64 v[20:21], v[123:124], v[22:23], -v[20:21]
	s_clause 0x3
	buffer_load_dword v123, off, s[28:31], 0 offset:1148
	buffer_load_dword v124, off, s[28:31], 0 offset:1152
	buffer_load_dword v125, off, s[28:31], 0 offset:1156
	buffer_load_dword v126, off, s[28:31], 0 offset:1160
	s_waitcnt vmcnt(0) lgkmcnt(27)
	v_mul_f64 v[22:23], v[125:126], v[26:27]
	v_fma_f64 v[22:23], v[123:124], v[24:25], v[22:23]
	v_mul_f64 v[24:25], v[125:126], v[24:25]
	v_fma_f64 v[24:25], v[123:124], v[26:27], -v[24:25]
	;; [unrolled: 10-line block ×19, first 2 shown]
	s_clause 0x7
	buffer_load_dword v123, off, s[28:31], 0 offset:1588
	buffer_load_dword v124, off, s[28:31], 0 offset:1592
	;; [unrolled: 1-line block ×8, first 2 shown]
	s_waitcnt vmcnt(0) lgkmcnt(0)
	s_barrier
	buffer_gl0_inv
	v_mul_f64 v[94:95], v[125:126], v[98:99]
	v_fma_f64 v[94:95], v[123:124], v[96:97], v[94:95]
	v_mul_f64 v[96:97], v[125:126], v[96:97]
	v_fma_f64 v[96:97], v[123:124], v[98:99], -v[96:97]
	v_mul_f64 v[98:99], v[170:171], v[102:103]
	v_fma_f64 v[98:99], v[168:169], v[100:101], v[98:99]
	v_mul_f64 v[100:101], v[170:171], v[100:101]
	v_fma_f64 v[123:124], v[168:169], v[102:103], -v[100:101]
	;; [unrolled: 4-line block ×6, first 2 shown]
	v_add_f64 v[100:101], v[16:17], v[22:23]
	v_add_f64 v[129:130], v[100:101], v[30:31]
	v_add_f64 v[100:101], v[22:23], v[30:31]
	v_add_f64 v[22:23], v[22:23], -v[30:31]
	v_add_f64 v[30:31], v[26:27], v[34:35]
	v_fma_f64 v[16:17], v[100:101], -0.5, v[16:17]
	v_add_f64 v[100:101], v[24:25], -v[32:33]
	v_fma_f64 v[30:31], v[30:31], -0.5, v[121:122]
	v_fma_f64 v[136:137], v[100:101], s[4:5], v[16:17]
	v_fma_f64 v[16:17], v[100:101], s[2:3], v[16:17]
	v_add_f64 v[100:101], v[18:19], v[24:25]
	v_add_f64 v[24:25], v[24:25], v[32:33]
	;; [unrolled: 1-line block ×3, first 2 shown]
	v_add_f64 v[32:33], v[28:29], -v[36:37]
	v_fma_f64 v[18:19], v[24:25], -0.5, v[18:19]
	v_fma_f64 v[102:103], v[32:33], s[4:5], v[30:31]
	v_fma_f64 v[30:31], v[32:33], s[2:3], v[30:31]
	v_add_f64 v[32:33], v[20:21], v[28:29]
	v_add_f64 v[28:29], v[28:29], v[36:37]
	v_fma_f64 v[24:25], v[22:23], s[2:3], v[18:19]
	v_fma_f64 v[18:19], v[22:23], s[4:5], v[18:19]
	v_add_f64 v[22:23], v[121:122], v[26:27]
	v_add_f64 v[26:27], v[26:27], -v[34:35]
	v_add_f64 v[32:33], v[32:33], v[36:37]
	v_fma_f64 v[20:21], v[28:29], -0.5, v[20:21]
	v_add_f64 v[22:23], v[22:23], v[34:35]
	v_add_f64 v[134:135], v[138:139], v[32:33]
	v_fma_f64 v[28:29], v[26:27], s[2:3], v[20:21]
	v_fma_f64 v[20:21], v[26:27], s[4:5], v[20:21]
	v_add_f64 v[182:183], v[138:139], -v[32:33]
	v_add_f64 v[32:33], v[48:49], v[56:57]
	v_add_f64 v[132:133], v[129:130], v[22:23]
	v_add_f64 v[180:181], v[129:130], -v[22:23]
	v_add_f64 v[22:23], v[44:45], v[52:53]
	v_mul_f64 v[26:27], v[28:29], s[4:5]
	v_mul_f64 v[34:35], v[20:21], s[4:5]
	v_mul_f64 v[20:21], v[20:21], -0.5
	v_mul_f64 v[28:29], v[28:29], 0.5
	v_fma_f64 v[32:33], v[32:33], -0.5, v[40:41]
	v_fma_f64 v[26:27], v[102:103], 0.5, v[26:27]
	v_fma_f64 v[34:35], v[30:31], -0.5, v[34:35]
	v_fma_f64 v[20:21], v[30:31], s[2:3], v[20:21]
	v_fma_f64 v[28:29], v[102:103], s[2:3], v[28:29]
	v_add_f64 v[116:117], v[136:137], v[26:27]
	v_add_f64 v[100:101], v[16:17], v[34:35]
	;; [unrolled: 1-line block ×3, first 2 shown]
	v_add_f64 v[174:175], v[18:19], -v[20:21]
	v_add_f64 v[18:19], v[42:43], v[50:51]
	v_add_f64 v[176:177], v[136:137], -v[26:27]
	v_add_f64 v[172:173], v[16:17], -v[34:35]
	v_add_f64 v[16:17], v[12:13], v[42:43]
	v_add_f64 v[26:27], v[46:47], v[54:55]
	v_add_f64 v[34:35], v[46:47], -v[54:55]
	v_add_f64 v[118:119], v[24:25], v[28:29]
	v_add_f64 v[178:179], v[24:25], -v[28:29]
	v_add_f64 v[28:29], v[48:49], -v[56:57]
	v_fma_f64 v[12:13], v[18:19], -0.5, v[12:13]
	v_add_f64 v[18:19], v[44:45], -v[52:53]
	v_add_f64 v[16:17], v[16:17], v[50:51]
	v_fma_f64 v[26:27], v[26:27], -0.5, v[38:39]
	v_fma_f64 v[36:37], v[34:35], s[2:3], v[32:33]
	v_fma_f64 v[32:33], v[34:35], s[4:5], v[32:33]
	;; [unrolled: 1-line block ×4, first 2 shown]
	v_add_f64 v[18:19], v[14:15], v[44:45]
	v_fma_f64 v[14:15], v[22:23], -0.5, v[14:15]
	v_add_f64 v[22:23], v[42:43], -v[50:51]
	v_fma_f64 v[30:31], v[28:29], s[4:5], v[26:27]
	v_fma_f64 v[26:27], v[28:29], s[2:3], v[26:27]
	v_add_f64 v[28:29], v[40:41], v[48:49]
	v_mul_f64 v[34:35], v[36:37], s[4:5]
	v_mul_f64 v[36:37], v[36:37], 0.5
	v_add_f64 v[18:19], v[18:19], v[52:53]
	v_fma_f64 v[24:25], v[22:23], s[2:3], v[14:15]
	v_fma_f64 v[14:15], v[22:23], s[4:5], v[14:15]
	v_add_f64 v[22:23], v[38:39], v[46:47]
	v_mul_f64 v[38:39], v[32:33], s[4:5]
	v_mul_f64 v[32:33], v[32:33], -0.5
	v_add_f64 v[28:29], v[28:29], v[56:57]
	v_fma_f64 v[34:35], v[30:31], 0.5, v[34:35]
	v_fma_f64 v[30:31], v[30:31], s[2:3], v[36:37]
	v_add_f64 v[22:23], v[22:23], v[54:55]
	v_fma_f64 v[38:39], v[26:27], -0.5, v[38:39]
	v_fma_f64 v[26:27], v[26:27], s[2:3], v[32:33]
	v_add_f64 v[170:171], v[18:19], v[28:29]
	v_add_f64 v[166:167], v[18:19], -v[28:29]
	v_add_f64 v[28:29], v[68:69], v[76:77]
	v_add_f64 v[162:163], v[24:25], v[30:31]
	v_add_f64 v[146:147], v[24:25], -v[30:31]
	v_add_f64 v[18:19], v[64:65], v[72:73]
	v_add_f64 v[24:25], v[68:69], -v[76:77]
	v_add_f64 v[30:31], v[66:67], -v[74:75]
	v_add_f64 v[160:161], v[20:21], v[34:35]
	v_add_f64 v[144:145], v[20:21], -v[34:35]
	v_add_f64 v[168:169], v[16:17], v[22:23]
	;; [unrolled: 2-line block ×4, first 2 shown]
	v_add_f64 v[22:23], v[66:67], v[74:75]
	v_add_f64 v[152:153], v[12:13], v[38:39]
	v_add_f64 v[140:141], v[12:13], -v[38:39]
	v_add_f64 v[12:13], v[8:9], v[62:63]
	v_fma_f64 v[28:29], v[28:29], -0.5, v[60:61]
	v_fma_f64 v[8:9], v[14:15], -0.5, v[8:9]
	v_add_f64 v[14:15], v[64:65], -v[72:73]
	v_fma_f64 v[22:23], v[22:23], -0.5, v[58:59]
	v_add_f64 v[12:13], v[12:13], v[70:71]
	v_fma_f64 v[32:33], v[30:31], s[2:3], v[28:29]
	v_fma_f64 v[28:29], v[30:31], s[4:5], v[28:29]
	;; [unrolled: 1-line block ×4, first 2 shown]
	v_add_f64 v[14:15], v[10:11], v[64:65]
	v_fma_f64 v[10:11], v[18:19], -0.5, v[10:11]
	v_add_f64 v[18:19], v[62:63], -v[70:71]
	v_fma_f64 v[26:27], v[24:25], s[4:5], v[22:23]
	v_fma_f64 v[22:23], v[24:25], s[2:3], v[22:23]
	v_add_f64 v[24:25], v[60:61], v[68:69]
	v_mul_f64 v[30:31], v[32:33], s[4:5]
	v_mul_f64 v[34:35], v[28:29], s[4:5]
	v_mul_f64 v[32:33], v[32:33], 0.5
	v_mul_f64 v[28:29], v[28:29], -0.5
	v_add_f64 v[14:15], v[14:15], v[72:73]
	v_fma_f64 v[20:21], v[18:19], s[2:3], v[10:11]
	v_fma_f64 v[10:11], v[18:19], s[4:5], v[10:11]
	v_add_f64 v[18:19], v[58:59], v[66:67]
	v_add_f64 v[24:25], v[24:25], v[76:77]
	v_fma_f64 v[30:31], v[26:27], 0.5, v[30:31]
	v_fma_f64 v[34:35], v[22:23], -0.5, v[34:35]
	v_fma_f64 v[26:27], v[26:27], s[2:3], v[32:33]
	v_fma_f64 v[22:23], v[22:23], s[2:3], v[28:29]
	v_add_f64 v[18:19], v[18:19], v[74:75]
	v_add_f64 v[70:71], v[14:15], v[24:25]
	v_add_f64 v[66:67], v[14:15], -v[24:25]
	v_add_f64 v[24:25], v[88:89], v[96:97]
	v_add_f64 v[62:63], v[20:21], v[26:27]
	;; [unrolled: 1-line block ×3, first 2 shown]
	v_add_f64 v[54:55], v[20:21], -v[26:27]
	v_add_f64 v[50:51], v[10:11], -v[22:23]
	v_add_f64 v[10:11], v[82:83], v[90:91]
	v_add_f64 v[26:27], v[86:87], -v[94:95]
	v_add_f64 v[56:57], v[8:9], v[34:35]
	;; [unrolled: 2-line block ×3, first 2 shown]
	v_add_f64 v[14:15], v[84:85], v[92:93]
	v_add_f64 v[20:21], v[88:89], -v[96:97]
	v_add_f64 v[60:61], v[16:17], v[30:31]
	v_add_f64 v[52:53], v[16:17], -v[30:31]
	;; [unrolled: 2-line block ×3, first 2 shown]
	v_add_f64 v[18:19], v[86:87], v[94:95]
	v_fma_f64 v[24:25], v[24:25], -0.5, v[80:81]
	v_fma_f64 v[4:5], v[10:11], -0.5, v[4:5]
	v_add_f64 v[10:11], v[84:85], -v[92:93]
	v_add_f64 v[8:9], v[8:9], v[90:91]
	v_fma_f64 v[18:19], v[18:19], -0.5, v[78:79]
	v_fma_f64 v[28:29], v[26:27], s[2:3], v[24:25]
	v_fma_f64 v[24:25], v[26:27], s[4:5], v[24:25]
	v_fma_f64 v[12:13], v[10:11], s[4:5], v[4:5]
	v_fma_f64 v[4:5], v[10:11], s[2:3], v[4:5]
	v_add_f64 v[10:11], v[6:7], v[84:85]
	v_fma_f64 v[6:7], v[14:15], -0.5, v[6:7]
	v_add_f64 v[14:15], v[82:83], -v[90:91]
	v_fma_f64 v[22:23], v[20:21], s[4:5], v[18:19]
	v_fma_f64 v[18:19], v[20:21], s[2:3], v[18:19]
	v_mul_f64 v[26:27], v[28:29], s[4:5]
	v_mul_f64 v[30:31], v[24:25], s[4:5]
	v_mul_f64 v[24:25], v[24:25], -0.5
	v_mul_f64 v[28:29], v[28:29], 0.5
	v_add_f64 v[20:21], v[80:81], v[88:89]
	v_add_f64 v[10:11], v[10:11], v[92:93]
	v_fma_f64 v[16:17], v[14:15], s[2:3], v[6:7]
	v_fma_f64 v[6:7], v[14:15], s[4:5], v[6:7]
	v_add_f64 v[14:15], v[78:79], v[86:87]
	v_fma_f64 v[26:27], v[22:23], 0.5, v[26:27]
	v_fma_f64 v[30:31], v[18:19], -0.5, v[30:31]
	v_fma_f64 v[18:19], v[18:19], s[2:3], v[24:25]
	v_fma_f64 v[22:23], v[22:23], s[2:3], v[28:29]
	v_add_f64 v[20:21], v[20:21], v[96:97]
	v_add_f64 v[14:15], v[14:15], v[94:95]
	;; [unrolled: 1-line block ×3, first 2 shown]
	v_add_f64 v[28:29], v[12:13], -v[26:27]
	v_add_f64 v[34:35], v[6:7], v[18:19]
	v_add_f64 v[26:27], v[6:7], -v[18:19]
	v_add_f64 v[6:7], v[125:126], v[110:111]
	v_add_f64 v[32:33], v[4:5], v[30:31]
	v_add_f64 v[24:25], v[4:5], -v[30:31]
	v_add_f64 v[4:5], v[0:1], v[125:126]
	;; [unrolled: 3-line block ×4, first 2 shown]
	v_add_f64 v[42:43], v[10:11], -v[20:21]
	v_add_f64 v[10:11], v[108:109], -v[127:128]
	;; [unrolled: 1-line block ×3, first 2 shown]
	v_fma_f64 v[0:1], v[6:7], -0.5, v[0:1]
	v_add_f64 v[6:7], v[104:105], -v[112:113]
	v_add_f64 v[4:5], v[4:5], v[110:111]
	v_fma_f64 v[18:19], v[6:7], s[4:5], v[0:1]
	v_fma_f64 v[0:1], v[6:7], s[2:3], v[0:1]
	v_add_f64 v[6:7], v[2:3], v[104:105]
	v_fma_f64 v[2:3], v[8:9], -0.5, v[2:3]
	v_add_f64 v[8:9], v[125:126], -v[110:111]
	v_add_f64 v[6:7], v[6:7], v[112:113]
	v_fma_f64 v[72:73], v[8:9], s[2:3], v[2:3]
	v_fma_f64 v[2:3], v[8:9], s[4:5], v[2:3]
	v_add_f64 v[8:9], v[98:99], v[106:107]
	v_add_f64 v[16:17], v[8:9], v[114:115]
	;; [unrolled: 1-line block ×4, first 2 shown]
	v_fma_f64 v[8:9], v[8:9], -0.5, v[98:99]
	v_add_f64 v[16:17], v[4:5], -v[16:17]
	v_fma_f64 v[14:15], v[10:11], s[4:5], v[8:9]
	v_fma_f64 v[10:11], v[10:11], s[2:3], v[8:9]
	v_add_f64 v[8:9], v[123:124], v[108:109]
	v_add_f64 v[74:75], v[8:9], v[127:128]
	;; [unrolled: 1-line block ×4, first 2 shown]
	v_fma_f64 v[8:9], v[8:9], -0.5, v[123:124]
	v_fma_f64 v[76:77], v[12:13], s[2:3], v[8:9]
	v_fma_f64 v[78:79], v[12:13], s[4:5], v[8:9]
	v_mul_f64 v[8:9], v[76:77], s[4:5]
	v_mul_f64 v[76:77], v[76:77], 0.5
	v_fma_f64 v[80:81], v[14:15], 0.5, v[8:9]
	v_fma_f64 v[76:77], v[14:15], s[2:3], v[76:77]
	v_mul_f64 v[8:9], v[78:79], s[4:5]
	v_mul_f64 v[78:79], v[78:79], -0.5
	v_add_f64 v[12:13], v[18:19], v[80:81]
	v_add_f64 v[14:15], v[72:73], v[76:77]
	v_add_f64 v[4:5], v[18:19], -v[80:81]
	v_add_f64 v[18:19], v[6:7], -v[74:75]
	v_add_f64 v[6:7], v[72:73], -v[76:77]
	buffer_load_dword v72, off, s[28:31], 0 offset:1772 ; 4-byte Folded Reload
	s_waitcnt vmcnt(0)
	ds_write_b128 v72, v[132:135]
	ds_write_b128 v72, v[116:119] offset:1440
	ds_write_b128 v72, v[100:103] offset:2880
	ds_write_b128 v72, v[180:183] offset:4320
	ds_write_b128 v72, v[176:179] offset:5760
	ds_write_b128 v72, v[172:175] offset:7200
	buffer_load_dword v72, off, s[28:31], 0 offset:1768 ; 4-byte Folded Reload
	s_waitcnt vmcnt(0)
	ds_write_b128 v72, v[168:171]
	ds_write_b128 v72, v[160:163] offset:1440
	ds_write_b128 v72, v[152:155] offset:2880
	ds_write_b128 v72, v[164:167] offset:4320
	ds_write_b128 v72, v[144:147] offset:5760
	ds_write_b128 v72, v[140:143] offset:7200
	;; [unrolled: 8-line block ×4, first 2 shown]
	buffer_load_dword v24, off, s[28:31], 0 offset:1276 ; 4-byte Folded Reload
	v_fma_f64 v[82:83], v[10:11], -0.5, v[8:9]
	v_fma_f64 v[78:79], v[10:11], s[2:3], v[78:79]
	v_add_f64 v[8:9], v[0:1], v[82:83]
	v_add_f64 v[10:11], v[2:3], v[78:79]
	v_add_f64 v[0:1], v[0:1], -v[82:83]
	v_add_f64 v[2:3], v[2:3], -v[78:79]
	s_waitcnt vmcnt(0)
	ds_write_b128 v24, v[20:23]
	ds_write_b128 v24, v[12:15] offset:1440
	ds_write_b128 v24, v[8:11] offset:2880
	;; [unrolled: 1-line block ×5, first 2 shown]
	s_waitcnt lgkmcnt(0)
	s_barrier
	buffer_gl0_inv
	ds_read_b128 v[8:11], v120
	ds_read_b128 v[56:59], v120 offset:8640
	ds_read_b128 v[60:63], v120 offset:17280
	;; [unrolled: 1-line block ×29, first 2 shown]
	s_clause 0x7
	buffer_load_dword v123, off, s[28:31], 0 offset:1360
	buffer_load_dword v124, off, s[28:31], 0 offset:1364
	;; [unrolled: 1-line block ×8, first 2 shown]
	s_waitcnt vmcnt(4) lgkmcnt(28)
	v_mul_f64 v[121:122], v[125:126], v[58:59]
	v_fma_f64 v[121:122], v[123:124], v[56:57], v[121:122]
	v_mul_f64 v[56:57], v[125:126], v[56:57]
	v_fma_f64 v[123:124], v[123:124], v[58:59], -v[56:57]
	s_waitcnt vmcnt(0) lgkmcnt(27)
	v_mul_f64 v[56:57], v[129:130], v[62:63]
	v_fma_f64 v[125:126], v[127:128], v[60:61], v[56:57]
	v_mul_f64 v[56:57], v[129:130], v[60:61]
	s_clause 0x3
	buffer_load_dword v58, off, s[28:31], 0 offset:1344
	buffer_load_dword v59, off, s[28:31], 0 offset:1348
	;; [unrolled: 1-line block ×4, first 2 shown]
	v_fma_f64 v[127:128], v[127:128], v[62:63], -v[56:57]
	s_waitcnt vmcnt(0) lgkmcnt(26)
	v_mul_f64 v[56:57], v[60:61], v[66:67]
	v_fma_f64 v[129:130], v[58:59], v[64:65], v[56:57]
	v_mul_f64 v[56:57], v[60:61], v[64:65]
	v_fma_f64 v[131:132], v[58:59], v[66:67], -v[56:57]
	s_clause 0x3
	buffer_load_dword v58, off, s[28:31], 0 offset:1312
	buffer_load_dword v59, off, s[28:31], 0 offset:1316
	buffer_load_dword v60, off, s[28:31], 0 offset:1320
	buffer_load_dword v61, off, s[28:31], 0 offset:1324
	s_waitcnt vmcnt(0) lgkmcnt(25)
	v_mul_f64 v[56:57], v[60:61], v[70:71]
	v_fma_f64 v[133:134], v[58:59], v[68:69], v[56:57]
	v_mul_f64 v[56:57], v[60:61], v[68:69]
	v_fma_f64 v[135:136], v[58:59], v[70:71], -v[56:57]
	s_clause 0x3
	buffer_load_dword v58, off, s[28:31], 0 offset:1296
	buffer_load_dword v59, off, s[28:31], 0 offset:1300
	buffer_load_dword v60, off, s[28:31], 0 offset:1304
	buffer_load_dword v61, off, s[28:31], 0 offset:1308
	;; [unrolled: 10-line block ×3, first 2 shown]
	s_waitcnt vmcnt(0) lgkmcnt(22)
	v_mul_f64 v[56:57], v[60:61], v[78:79]
	v_fma_f64 v[141:142], v[58:59], v[76:77], v[56:57]
	v_mul_f64 v[56:57], v[60:61], v[76:77]
	s_clause 0x3
	buffer_load_dword v60, off, s[28:31], 0 offset:1440
	buffer_load_dword v61, off, s[28:31], 0 offset:1444
	;; [unrolled: 1-line block ×4, first 2 shown]
	v_fma_f64 v[56:57], v[58:59], v[78:79], -v[56:57]
	s_waitcnt vmcnt(0) lgkmcnt(21)
	v_mul_f64 v[58:59], v[62:63], v[82:83]
	v_fma_f64 v[143:144], v[60:61], v[80:81], v[58:59]
	v_mul_f64 v[58:59], v[62:63], v[80:81]
	s_clause 0x3
	buffer_load_dword v62, off, s[28:31], 0 offset:1376
	buffer_load_dword v63, off, s[28:31], 0 offset:1380
	;; [unrolled: 1-line block ×4, first 2 shown]
	v_fma_f64 v[145:146], v[60:61], v[82:83], -v[58:59]
	s_waitcnt vmcnt(0) lgkmcnt(20)
	v_mul_f64 v[58:59], v[64:65], v[86:87]
	v_mul_f64 v[60:61], v[64:65], v[84:85]
	v_fma_f64 v[58:59], v[62:63], v[84:85], v[58:59]
	v_fma_f64 v[147:148], v[62:63], v[86:87], -v[60:61]
	s_clause 0x3
	buffer_load_dword v62, off, s[28:31], 0 offset:1328
	buffer_load_dword v63, off, s[28:31], 0 offset:1332
	buffer_load_dword v64, off, s[28:31], 0 offset:1336
	buffer_load_dword v65, off, s[28:31], 0 offset:1340
	s_waitcnt vmcnt(0) lgkmcnt(19)
	v_mul_f64 v[60:61], v[64:65], v[90:91]
	v_fma_f64 v[149:150], v[62:63], v[88:89], v[60:61]
	v_mul_f64 v[60:61], v[64:65], v[88:89]
	v_fma_f64 v[151:152], v[62:63], v[90:91], -v[60:61]
	s_clause 0x3
	buffer_load_dword v62, off, s[28:31], 0 offset:1604
	buffer_load_dword v63, off, s[28:31], 0 offset:1608
	buffer_load_dword v64, off, s[28:31], 0 offset:1612
	buffer_load_dword v65, off, s[28:31], 0 offset:1616
	s_waitcnt vmcnt(0) lgkmcnt(18)
	v_mul_f64 v[60:61], v[64:65], v[94:95]
	v_fma_f64 v[153:154], v[62:63], v[92:93], v[60:61]
	v_mul_f64 v[60:61], v[64:65], v[92:93]
	;; [unrolled: 10-line block ×3, first 2 shown]
	s_clause 0x3
	buffer_load_dword v64, off, s[28:31], 0 offset:1716
	buffer_load_dword v65, off, s[28:31], 0 offset:1720
	;; [unrolled: 1-line block ×4, first 2 shown]
	v_fma_f64 v[60:61], v[62:63], v[98:99], -v[60:61]
	s_waitcnt vmcnt(0) lgkmcnt(15)
	v_mul_f64 v[62:63], v[66:67], v[102:103]
	v_fma_f64 v[72:73], v[64:65], v[100:101], v[62:63]
	v_mul_f64 v[62:63], v[66:67], v[100:101]
	s_clause 0x7
	buffer_load_dword v66, off, s[28:31], 0 offset:1700
	buffer_load_dword v67, off, s[28:31], 0 offset:1704
	;; [unrolled: 1-line block ×8, first 2 shown]
	v_fma_f64 v[74:75], v[64:65], v[102:103], -v[62:63]
	s_waitcnt vmcnt(4) lgkmcnt(14)
	v_mul_f64 v[62:63], v[68:69], v[106:107]
	v_mul_f64 v[64:65], v[68:69], v[104:105]
	v_fma_f64 v[62:63], v[66:67], v[104:105], v[62:63]
	v_fma_f64 v[66:67], v[66:67], v[106:107], -v[64:65]
	s_waitcnt vmcnt(0) lgkmcnt(13)
	v_mul_f64 v[64:65], v[80:81], v[110:111]
	v_fma_f64 v[76:77], v[78:79], v[108:109], v[64:65]
	v_mul_f64 v[64:65], v[80:81], v[108:109]
	s_clause 0x3
	buffer_load_dword v80, off, s[28:31], 0 offset:1620
	buffer_load_dword v81, off, s[28:31], 0 offset:1624
	;; [unrolled: 1-line block ×4, first 2 shown]
	v_fma_f64 v[78:79], v[78:79], v[110:111], -v[64:65]
	s_waitcnt vmcnt(0) lgkmcnt(12)
	v_mul_f64 v[64:65], v[82:83], v[114:115]
	v_mul_f64 v[68:69], v[82:83], v[112:113]
	s_clause 0x3
	buffer_load_dword v82, off, s[28:31], 0 offset:1748
	buffer_load_dword v83, off, s[28:31], 0 offset:1752
	;; [unrolled: 1-line block ×4, first 2 shown]
	v_fma_f64 v[64:65], v[80:81], v[112:113], v[64:65]
	v_fma_f64 v[68:69], v[80:81], v[114:115], -v[68:69]
	s_waitcnt vmcnt(0) lgkmcnt(10)
	v_mul_f64 v[80:81], v[84:85], v[118:119]
	v_fma_f64 v[88:89], v[82:83], v[116:117], v[80:81]
	v_mul_f64 v[80:81], v[84:85], v[116:117]
	s_clause 0x3
	buffer_load_dword v84, off, s[28:31], 0 offset:1732
	buffer_load_dword v85, off, s[28:31], 0 offset:1736
	;; [unrolled: 1-line block ×4, first 2 shown]
	v_fma_f64 v[80:81], v[82:83], v[118:119], -v[80:81]
	s_waitcnt lgkmcnt(9)
	v_mul_f64 v[82:83], v[242:243], v[54:55]
	v_fma_f64 v[92:93], v[240:241], v[52:53], v[82:83]
	v_mul_f64 v[52:53], v[242:243], v[52:53]
	v_fma_f64 v[96:97], v[240:241], v[54:55], -v[52:53]
	s_waitcnt vmcnt(0) lgkmcnt(8)
	v_mul_f64 v[52:53], v[86:87], v[50:51]
	v_fma_f64 v[82:83], v[84:85], v[48:49], v[52:53]
	v_mul_f64 v[48:49], v[86:87], v[48:49]
	v_fma_f64 v[84:85], v[84:85], v[50:51], -v[48:49]
	s_clause 0x3
	buffer_load_dword v50, off, s[28:31], 0 offset:1668
	buffer_load_dword v51, off, s[28:31], 0 offset:1672
	buffer_load_dword v52, off, s[28:31], 0 offset:1676
	buffer_load_dword v53, off, s[28:31], 0 offset:1680
	s_waitcnt vmcnt(0) lgkmcnt(7)
	v_mul_f64 v[48:49], v[52:53], v[46:47]
	v_fma_f64 v[94:95], v[50:51], v[44:45], v[48:49]
	v_mul_f64 v[44:45], v[52:53], v[44:45]
	v_fma_f64 v[98:99], v[50:51], v[46:47], -v[44:45]
	s_waitcnt lgkmcnt(6)
	v_mul_f64 v[44:45], v[226:227], v[42:43]
	v_fma_f64 v[86:87], v[224:225], v[40:41], v[44:45]
	v_mul_f64 v[40:41], v[226:227], v[40:41]
	v_fma_f64 v[90:91], v[224:225], v[42:43], -v[40:41]
	s_waitcnt lgkmcnt(4)
	;; [unrolled: 5-line block ×5, first 2 shown]
	v_mul_f64 v[20:21], v[222:223], v[18:19]
	v_fma_f64 v[114:115], v[220:221], v[16:17], v[20:21]
	v_mul_f64 v[16:17], v[222:223], v[16:17]
	v_add_f64 v[20:21], v[129:130], -v[137:138]
	v_fma_f64 v[118:119], v[220:221], v[18:19], -v[16:17]
	s_waitcnt lgkmcnt(0)
	v_mul_f64 v[16:17], v[186:187], v[14:15]
	v_add_f64 v[18:19], v[131:132], -v[139:140]
	v_fma_f64 v[104:105], v[184:185], v[12:13], v[16:17]
	v_mul_f64 v[12:13], v[186:187], v[12:13]
	v_add_f64 v[16:17], v[127:128], v[135:136]
	v_fma_f64 v[108:109], v[184:185], v[14:15], -v[12:13]
	v_add_f64 v[14:15], v[125:126], v[133:134]
	v_add_f64 v[12:13], v[8:9], v[125:126]
	v_fma_f64 v[8:9], v[14:15], -0.5, v[8:9]
	v_add_f64 v[14:15], v[127:128], -v[135:136]
	v_add_f64 v[12:13], v[12:13], v[133:134]
	v_fma_f64 v[26:27], v[14:15], s[4:5], v[8:9]
	v_fma_f64 v[8:9], v[14:15], s[2:3], v[8:9]
	v_add_f64 v[14:15], v[10:11], v[127:128]
	v_fma_f64 v[10:11], v[16:17], -0.5, v[10:11]
	v_add_f64 v[16:17], v[125:126], -v[133:134]
	v_add_f64 v[14:15], v[14:15], v[135:136]
	v_fma_f64 v[40:41], v[16:17], s[2:3], v[10:11]
	v_fma_f64 v[10:11], v[16:17], s[4:5], v[10:11]
	v_add_f64 v[16:17], v[121:122], v[129:130]
	v_add_f64 v[24:25], v[16:17], v[137:138]
	v_add_f64 v[16:17], v[129:130], v[137:138]
	v_add_f64 v[28:29], v[12:13], v[24:25]
	v_fma_f64 v[16:17], v[16:17], -0.5, v[121:122]
	v_add_f64 v[24:25], v[12:13], -v[24:25]
	v_fma_f64 v[22:23], v[18:19], s[4:5], v[16:17]
	v_fma_f64 v[18:19], v[18:19], s[2:3], v[16:17]
	v_add_f64 v[16:17], v[123:124], v[131:132]
	v_add_f64 v[42:43], v[16:17], v[139:140]
	;; [unrolled: 1-line block ×4, first 2 shown]
	v_fma_f64 v[16:17], v[16:17], -0.5, v[123:124]
	v_fma_f64 v[44:45], v[20:21], s[2:3], v[16:17]
	v_fma_f64 v[46:47], v[20:21], s[4:5], v[16:17]
	v_mul_f64 v[16:17], v[44:45], s[4:5]
	v_mul_f64 v[44:45], v[44:45], 0.5
	v_fma_f64 v[48:49], v[22:23], 0.5, v[16:17]
	v_fma_f64 v[44:45], v[22:23], s[2:3], v[44:45]
	v_mul_f64 v[16:17], v[46:47], s[4:5]
	v_mul_f64 v[46:47], v[46:47], -0.5
	v_add_f64 v[20:21], v[26:27], v[48:49]
	v_add_f64 v[12:13], v[26:27], -v[48:49]
	v_add_f64 v[26:27], v[14:15], -v[42:43]
	v_add_f64 v[42:43], v[143:144], v[149:150]
	v_add_f64 v[22:23], v[40:41], v[44:45]
	v_add_f64 v[14:15], v[40:41], -v[44:45]
	v_add_f64 v[40:41], v[32:33], v[143:144]
	v_fma_f64 v[46:47], v[18:19], s[2:3], v[46:47]
	v_fma_f64 v[50:51], v[18:19], -0.5, v[16:17]
	v_fma_f64 v[32:33], v[42:43], -0.5, v[32:33]
	v_add_f64 v[42:43], v[145:146], -v[151:152]
	v_add_f64 v[40:41], v[40:41], v[149:150]
	v_add_f64 v[18:19], v[10:11], v[46:47]
	v_add_f64 v[10:11], v[10:11], -v[46:47]
	v_add_f64 v[16:17], v[8:9], v[50:51]
	v_add_f64 v[8:9], v[8:9], -v[50:51]
	v_fma_f64 v[44:45], v[42:43], s[4:5], v[32:33]
	v_fma_f64 v[42:43], v[42:43], s[2:3], v[32:33]
	v_add_f64 v[32:33], v[34:35], v[145:146]
	v_add_f64 v[46:47], v[32:33], v[151:152]
	;; [unrolled: 1-line block ×3, first 2 shown]
	v_fma_f64 v[32:33], v[32:33], -0.5, v[34:35]
	v_add_f64 v[34:35], v[143:144], -v[149:150]
	v_fma_f64 v[121:122], v[34:35], s[2:3], v[32:33]
	v_fma_f64 v[123:124], v[34:35], s[4:5], v[32:33]
	v_add_f64 v[32:33], v[141:142], v[58:59]
	v_add_f64 v[34:35], v[147:148], -v[155:156]
	v_add_f64 v[125:126], v[32:33], v[153:154]
	v_add_f64 v[32:33], v[58:59], v[153:154]
	v_fma_f64 v[32:33], v[32:33], -0.5, v[141:142]
	v_fma_f64 v[50:51], v[34:35], s[4:5], v[32:33]
	v_fma_f64 v[127:128], v[34:35], s[2:3], v[32:33]
	v_add_f64 v[32:33], v[56:57], v[147:148]
	v_add_f64 v[34:35], v[58:59], -v[153:154]
	v_add_f64 v[129:130], v[32:33], v[155:156]
	v_add_f64 v[32:33], v[147:148], v[155:156]
	v_fma_f64 v[32:33], v[32:33], -0.5, v[56:57]
	v_fma_f64 v[54:55], v[34:35], s[2:3], v[32:33]
	v_fma_f64 v[56:57], v[34:35], s[4:5], v[32:33]
	v_add_f64 v[32:33], v[40:41], v[125:126]
	v_mul_f64 v[34:35], v[54:55], s[4:5]
	v_mul_f64 v[54:55], v[54:55], 0.5
	v_fma_f64 v[58:59], v[50:51], 0.5, v[34:35]
	v_mul_f64 v[34:35], v[56:57], s[4:5]
	v_fma_f64 v[133:134], v[50:51], s[2:3], v[54:55]
	v_mul_f64 v[50:51], v[56:57], -0.5
	v_add_f64 v[56:57], v[40:41], -v[125:126]
	v_add_f64 v[52:53], v[44:45], v[58:59]
	v_fma_f64 v[131:132], v[127:128], -0.5, v[34:35]
	v_add_f64 v[34:35], v[46:47], v[129:130]
	v_fma_f64 v[127:128], v[127:128], s[2:3], v[50:51]
	v_add_f64 v[54:55], v[121:122], v[133:134]
	v_add_f64 v[44:45], v[44:45], -v[58:59]
	v_add_f64 v[58:59], v[46:47], -v[129:130]
	;; [unrolled: 1-line block ×3, first 2 shown]
	v_add_f64 v[121:122], v[36:37], v[72:73]
	v_add_f64 v[48:49], v[42:43], v[131:132]
	v_add_f64 v[40:41], v[42:43], -v[131:132]
	v_add_f64 v[50:51], v[123:124], v[127:128]
	v_add_f64 v[42:43], v[123:124], -v[127:128]
	;; [unrolled: 2-line block ×3, first 2 shown]
	v_add_f64 v[121:122], v[121:122], v[76:77]
	v_fma_f64 v[36:37], v[123:124], -0.5, v[36:37]
	v_add_f64 v[123:124], v[74:75], -v[78:79]
	v_fma_f64 v[125:126], v[123:124], s[4:5], v[36:37]
	v_fma_f64 v[36:37], v[123:124], s[2:3], v[36:37]
	v_add_f64 v[123:124], v[38:39], v[74:75]
	v_add_f64 v[74:75], v[74:75], v[78:79]
	v_add_f64 v[123:124], v[123:124], v[78:79]
	v_fma_f64 v[38:39], v[74:75], -0.5, v[38:39]
	v_add_f64 v[74:75], v[62:63], v[64:65]
	v_fma_f64 v[127:128], v[72:73], s[2:3], v[38:39]
	v_fma_f64 v[38:39], v[72:73], s[4:5], v[38:39]
	v_add_f64 v[72:73], v[70:71], v[62:63]
	v_fma_f64 v[70:71], v[74:75], -0.5, v[70:71]
	v_add_f64 v[74:75], v[66:67], -v[68:69]
	v_add_f64 v[62:63], v[62:63], -v[64:65]
	v_add_f64 v[72:73], v[72:73], v[64:65]
	v_fma_f64 v[129:130], v[74:75], s[4:5], v[70:71]
	v_fma_f64 v[74:75], v[74:75], s[2:3], v[70:71]
	v_add_f64 v[70:71], v[60:61], v[66:67]
	v_add_f64 v[66:67], v[66:67], v[68:69]
	;; [unrolled: 1-line block ×3, first 2 shown]
	v_add_f64 v[72:73], v[121:122], -v[72:73]
	v_add_f64 v[121:122], v[4:5], v[92:93]
	v_add_f64 v[131:132], v[70:71], v[68:69]
	v_fma_f64 v[60:61], v[66:67], -0.5, v[60:61]
	v_add_f64 v[121:122], v[121:122], v[94:95]
	v_add_f64 v[78:79], v[123:124], v[131:132]
	v_fma_f64 v[66:67], v[62:63], s[2:3], v[60:61]
	v_fma_f64 v[60:61], v[62:63], s[4:5], v[60:61]
	v_mul_f64 v[62:63], v[66:67], s[4:5]
	v_mul_f64 v[64:65], v[60:61], s[4:5]
	v_mul_f64 v[60:61], v[60:61], -0.5
	v_mul_f64 v[66:67], v[66:67], 0.5
	v_fma_f64 v[62:63], v[129:130], 0.5, v[62:63]
	v_fma_f64 v[133:134], v[74:75], -0.5, v[64:65]
	v_fma_f64 v[135:136], v[74:75], s[2:3], v[60:61]
	v_add_f64 v[74:75], v[123:124], -v[131:132]
	v_add_f64 v[123:124], v[92:93], v[94:95]
	v_fma_f64 v[129:130], v[129:130], s[2:3], v[66:67]
	v_add_f64 v[92:93], v[92:93], -v[94:95]
	v_add_f64 v[94:95], v[82:83], v[86:87]
	v_add_f64 v[68:69], v[125:126], v[62:63]
	v_add_f64 v[60:61], v[125:126], -v[62:63]
	v_add_f64 v[64:65], v[36:37], v[133:134]
	v_add_f64 v[66:67], v[38:39], v[135:136]
	v_fma_f64 v[4:5], v[123:124], -0.5, v[4:5]
	v_add_f64 v[123:124], v[96:97], -v[98:99]
	v_add_f64 v[70:71], v[127:128], v[129:130]
	v_add_f64 v[62:63], v[127:128], -v[129:130]
	v_add_f64 v[36:37], v[36:37], -v[133:134]
	;; [unrolled: 1-line block ×3, first 2 shown]
	v_fma_f64 v[125:126], v[123:124], s[4:5], v[4:5]
	v_fma_f64 v[4:5], v[123:124], s[2:3], v[4:5]
	v_add_f64 v[123:124], v[6:7], v[96:97]
	v_add_f64 v[96:97], v[96:97], v[98:99]
	;; [unrolled: 1-line block ×3, first 2 shown]
	v_fma_f64 v[6:7], v[96:97], -0.5, v[6:7]
	v_fma_f64 v[127:128], v[92:93], s[2:3], v[6:7]
	v_fma_f64 v[6:7], v[92:93], s[4:5], v[6:7]
	v_add_f64 v[92:93], v[88:89], v[82:83]
	v_fma_f64 v[88:89], v[94:95], -0.5, v[88:89]
	v_add_f64 v[94:95], v[84:85], -v[90:91]
	v_add_f64 v[82:83], v[82:83], -v[86:87]
	v_add_f64 v[92:93], v[92:93], v[86:87]
	v_fma_f64 v[129:130], v[94:95], s[4:5], v[88:89]
	v_fma_f64 v[94:95], v[94:95], s[2:3], v[88:89]
	v_add_f64 v[88:89], v[80:81], v[84:85]
	v_add_f64 v[84:85], v[84:85], v[90:91]
	;; [unrolled: 1-line block ×3, first 2 shown]
	v_add_f64 v[92:93], v[121:122], -v[92:93]
	v_add_f64 v[121:122], v[0:1], v[112:113]
	v_add_f64 v[131:132], v[88:89], v[90:91]
	v_fma_f64 v[80:81], v[84:85], -0.5, v[80:81]
	v_add_f64 v[121:122], v[121:122], v[114:115]
	v_add_f64 v[98:99], v[123:124], v[131:132]
	v_fma_f64 v[86:87], v[82:83], s[2:3], v[80:81]
	v_fma_f64 v[80:81], v[82:83], s[4:5], v[80:81]
	v_mul_f64 v[82:83], v[86:87], s[4:5]
	v_mul_f64 v[84:85], v[80:81], s[4:5]
	v_mul_f64 v[80:81], v[80:81], -0.5
	v_mul_f64 v[86:87], v[86:87], 0.5
	v_fma_f64 v[82:83], v[129:130], 0.5, v[82:83]
	v_fma_f64 v[133:134], v[94:95], -0.5, v[84:85]
	v_fma_f64 v[135:136], v[94:95], s[2:3], v[80:81]
	v_add_f64 v[94:95], v[123:124], -v[131:132]
	v_add_f64 v[123:124], v[112:113], v[114:115]
	v_fma_f64 v[129:130], v[129:130], s[2:3], v[86:87]
	v_add_f64 v[88:89], v[125:126], v[82:83]
	v_add_f64 v[80:81], v[125:126], -v[82:83]
	v_add_f64 v[84:85], v[4:5], v[133:134]
	v_add_f64 v[86:87], v[6:7], v[135:136]
	v_fma_f64 v[0:1], v[123:124], -0.5, v[0:1]
	v_add_f64 v[123:124], v[116:117], -v[118:119]
	v_add_f64 v[90:91], v[127:128], v[129:130]
	v_add_f64 v[82:83], v[127:128], -v[129:130]
	v_add_f64 v[4:5], v[4:5], -v[133:134]
	;; [unrolled: 1-line block ×3, first 2 shown]
	v_fma_f64 v[125:126], v[123:124], s[4:5], v[0:1]
	v_fma_f64 v[123:124], v[123:124], s[2:3], v[0:1]
	v_add_f64 v[0:1], v[2:3], v[116:117]
	v_add_f64 v[127:128], v[0:1], v[118:119]
	;; [unrolled: 1-line block ×3, first 2 shown]
	v_fma_f64 v[0:1], v[0:1], -0.5, v[2:3]
	v_add_f64 v[2:3], v[112:113], -v[114:115]
	v_fma_f64 v[114:115], v[2:3], s[2:3], v[0:1]
	v_fma_f64 v[118:119], v[2:3], s[4:5], v[0:1]
	v_add_f64 v[0:1], v[110:111], v[102:103]
	v_add_f64 v[2:3], v[106:107], -v[108:109]
	v_add_f64 v[112:113], v[0:1], v[104:105]
	v_add_f64 v[0:1], v[102:103], v[104:105]
	v_fma_f64 v[0:1], v[0:1], -0.5, v[110:111]
	v_fma_f64 v[110:111], v[2:3], s[4:5], v[0:1]
	v_fma_f64 v[116:117], v[2:3], s[2:3], v[0:1]
	v_add_f64 v[0:1], v[100:101], v[106:107]
	v_add_f64 v[2:3], v[102:103], -v[104:105]
	v_add_f64 v[129:130], v[0:1], v[108:109]
	v_add_f64 v[0:1], v[106:107], v[108:109]
	v_add_f64 v[108:109], v[121:122], -v[112:113]
	v_fma_f64 v[0:1], v[0:1], -0.5, v[100:101]
	v_fma_f64 v[102:103], v[2:3], s[2:3], v[0:1]
	v_fma_f64 v[106:107], v[2:3], s[4:5], v[0:1]
	v_add_f64 v[0:1], v[121:122], v[112:113]
	v_mul_f64 v[2:3], v[102:103], s[4:5]
	v_mul_f64 v[102:103], v[102:103], 0.5
	v_fma_f64 v[131:132], v[110:111], 0.5, v[2:3]
	v_mul_f64 v[2:3], v[106:107], s[4:5]
	v_mul_f64 v[106:107], v[106:107], -0.5
	v_fma_f64 v[135:136], v[110:111], s[2:3], v[102:103]
	v_add_f64 v[110:111], v[127:128], -v[129:130]
	s_mul_i32 s4, s1, 0x4380
	s_mul_hi_u32 s5, s0, 0x4380
	s_add_i32 s4, s5, s4
	s_mul_i32 s5, s0, 0x4380
	v_add_f64 v[100:101], v[125:126], v[131:132]
	v_fma_f64 v[133:134], v[116:117], -0.5, v[2:3]
	v_fma_f64 v[137:138], v[116:117], s[2:3], v[106:107]
	v_add_f64 v[2:3], v[127:128], v[129:130]
	v_add_f64 v[102:103], v[114:115], v[135:136]
	v_add_f64 v[112:113], v[125:126], -v[131:132]
	v_add_f64 v[114:115], v[114:115], -v[135:136]
	s_mov_b32 s2, 0x30abee4d
	s_mov_b32 s3, 0x3f343a27
	v_add_f64 v[104:105], v[123:124], v[133:134]
	v_add_f64 v[106:107], v[118:119], v[137:138]
	v_add_f64 v[116:117], v[123:124], -v[133:134]
	v_add_f64 v[118:119], v[118:119], -v[137:138]
	ds_write_b128 v120, v[28:31]
	ds_write_b128 v120, v[20:23] offset:8640
	ds_write_b128 v120, v[16:19] offset:17280
	;; [unrolled: 1-line block ×29, first 2 shown]
	s_waitcnt lgkmcnt(0)
	s_barrier
	buffer_gl0_inv
	ds_read_b128 v[0:3], v120
	s_clause 0x3
	buffer_load_dword v6, off, s[28:31], 0 offset:40
	buffer_load_dword v7, off, s[28:31], 0 offset:44
	;; [unrolled: 1-line block ×4, first 2 shown]
	s_waitcnt vmcnt(0) lgkmcnt(0)
	v_mul_f64 v[4:5], v[8:9], v[2:3]
	v_fma_f64 v[4:5], v[6:7], v[0:1], v[4:5]
	v_mul_f64 v[0:1], v[8:9], v[0:1]
	v_mul_f64 v[4:5], v[4:5], s[2:3]
	v_fma_f64 v[0:1], v[6:7], v[2:3], -v[0:1]
	buffer_load_dword v2, off, s[28:31], 0 offset:488 ; 4-byte Folded Reload
	v_mul_f64 v[6:7], v[0:1], s[2:3]
	s_waitcnt vmcnt(0)
	v_mad_u64_u32 v[0:1], null, s0, v2, 0
	s_mul_i32 s0, s0, 0xffff7fc0
	v_mad_u64_u32 v[1:2], null, s1, v2, v[1:2]
	s_clause 0x1
	buffer_load_dword v2, off, s[28:31], 0
	buffer_load_dword v3, off, s[28:31], 0 offset:4
	s_mul_i32 s1, s1, 0xffff7fc0
	s_add_i32 s1, s6, s1
	v_lshlrev_b64 v[0:1], 4, v[0:1]
	s_waitcnt vmcnt(0)
	v_lshlrev_b64 v[2:3], 4, v[2:3]
	v_add_co_u32 v2, vcc_lo, s12, v2
	v_add_co_ci_u32_e32 v3, vcc_lo, s13, v3, vcc_lo
	v_add_co_u32 v8, vcc_lo, v2, v0
	v_add_co_ci_u32_e32 v9, vcc_lo, v3, v1, vcc_lo
	ds_read_b128 v[0:3], v120 offset:17280
	global_store_dwordx4 v[8:9], v[4:7], off
	s_clause 0x3
	buffer_load_dword v10, off, s[28:31], 0 offset:24
	buffer_load_dword v11, off, s[28:31], 0 offset:28
	buffer_load_dword v12, off, s[28:31], 0 offset:32
	buffer_load_dword v13, off, s[28:31], 0 offset:36
	v_add_co_u32 v8, vcc_lo, v8, s5
	v_add_co_ci_u32_e32 v9, vcc_lo, s4, v9, vcc_lo
	s_waitcnt vmcnt(0) lgkmcnt(0)
	v_mul_f64 v[4:5], v[12:13], v[2:3]
	v_fma_f64 v[4:5], v[10:11], v[0:1], v[4:5]
	v_mul_f64 v[0:1], v[12:13], v[0:1]
	v_mul_f64 v[4:5], v[4:5], s[2:3]
	v_fma_f64 v[0:1], v[10:11], v[2:3], -v[0:1]
	v_mul_f64 v[6:7], v[0:1], s[2:3]
	ds_read_b128 v[0:3], v120 offset:34560
	global_store_dwordx4 v[8:9], v[4:7], off
	s_clause 0x3
	buffer_load_dword v10, off, s[28:31], 0 offset:8
	buffer_load_dword v11, off, s[28:31], 0 offset:12
	buffer_load_dword v12, off, s[28:31], 0 offset:16
	buffer_load_dword v13, off, s[28:31], 0 offset:20
	v_add_co_u32 v8, vcc_lo, v8, s5
	v_add_co_ci_u32_e32 v9, vcc_lo, s4, v9, vcc_lo
	s_waitcnt vmcnt(0) lgkmcnt(0)
	v_mul_f64 v[4:5], v[12:13], v[2:3]
	v_fma_f64 v[4:5], v[10:11], v[0:1], v[4:5]
	v_mul_f64 v[0:1], v[12:13], v[0:1]
	v_mul_f64 v[4:5], v[4:5], s[2:3]
	v_fma_f64 v[0:1], v[10:11], v[2:3], -v[0:1]
	v_mul_f64 v[6:7], v[0:1], s[2:3]
	;; [unrolled: 16-line block ×26, first 2 shown]
	ds_read_b128 v[0:3], v120 offset:15552
	global_store_dwordx4 v[8:9], v[4:7], off
	s_clause 0x3
	buffer_load_dword v10, off, s[28:31], 0 offset:472
	buffer_load_dword v11, off, s[28:31], 0 offset:476
	;; [unrolled: 1-line block ×4, first 2 shown]
	s_waitcnt vmcnt(0) lgkmcnt(0)
	v_mul_f64 v[4:5], v[12:13], v[2:3]
	v_fma_f64 v[4:5], v[10:11], v[0:1], v[4:5]
	v_mul_f64 v[0:1], v[12:13], v[0:1]
	v_mul_f64 v[4:5], v[4:5], s[2:3]
	v_fma_f64 v[0:1], v[10:11], v[2:3], -v[0:1]
	v_add_co_u32 v10, vcc_lo, v8, s0
	v_add_co_ci_u32_e32 v11, vcc_lo, s1, v9, vcc_lo
	v_mul_f64 v[6:7], v[0:1], s[2:3]
	ds_read_b128 v[0:3], v120 offset:32832
	global_store_dwordx4 v[10:11], v[4:7], off
	s_clause 0x3
	buffer_load_dword v12, off, s[28:31], 0 offset:456
	buffer_load_dword v13, off, s[28:31], 0 offset:460
	;; [unrolled: 1-line block ×4, first 2 shown]
	s_waitcnt vmcnt(0) lgkmcnt(0)
	v_mul_f64 v[4:5], v[14:15], v[2:3]
	v_fma_f64 v[4:5], v[12:13], v[0:1], v[4:5]
	v_mul_f64 v[0:1], v[14:15], v[0:1]
	v_mul_f64 v[6:7], v[4:5], s[2:3]
	v_fma_f64 v[0:1], v[12:13], v[2:3], -v[0:1]
	v_add_co_u32 v4, vcc_lo, v10, s5
	v_add_co_ci_u32_e32 v5, vcc_lo, s4, v11, vcc_lo
	v_mul_f64 v[8:9], v[0:1], s[2:3]
	ds_read_b128 v[0:3], v120 offset:50112
	global_store_dwordx4 v[4:5], v[6:9], off
	s_clause 0x3
	buffer_load_dword v8, off, s[28:31], 0 offset:56
	buffer_load_dword v9, off, s[28:31], 0 offset:60
	;; [unrolled: 1-line block ×4, first 2 shown]
	s_waitcnt vmcnt(0) lgkmcnt(0)
	v_mul_f64 v[6:7], v[10:11], v[2:3]
	v_fma_f64 v[6:7], v[8:9], v[0:1], v[6:7]
	v_mul_f64 v[0:1], v[10:11], v[0:1]
	v_mul_f64 v[6:7], v[6:7], s[2:3]
	v_fma_f64 v[0:1], v[8:9], v[2:3], -v[0:1]
	v_mul_f64 v[8:9], v[0:1], s[2:3]
	v_add_co_u32 v0, vcc_lo, v4, s5
	v_add_co_ci_u32_e32 v1, vcc_lo, s4, v5, vcc_lo
	global_store_dwordx4 v[0:1], v[6:9], off
.LBB0_2:
	s_endpgm
	.section	.rodata,"a",@progbits
	.p2align	6, 0x0
	.amdhsa_kernel bluestein_single_back_len3240_dim1_dp_op_CI_CI
		.amdhsa_group_segment_fixed_size 51840
		.amdhsa_private_segment_fixed_size 1780
		.amdhsa_kernarg_size 104
		.amdhsa_user_sgpr_count 6
		.amdhsa_user_sgpr_private_segment_buffer 1
		.amdhsa_user_sgpr_dispatch_ptr 0
		.amdhsa_user_sgpr_queue_ptr 0
		.amdhsa_user_sgpr_kernarg_segment_ptr 1
		.amdhsa_user_sgpr_dispatch_id 0
		.amdhsa_user_sgpr_flat_scratch_init 0
		.amdhsa_user_sgpr_private_segment_size 0
		.amdhsa_wavefront_size32 1
		.amdhsa_uses_dynamic_stack 0
		.amdhsa_system_sgpr_private_segment_wavefront_offset 1
		.amdhsa_system_sgpr_workgroup_id_x 1
		.amdhsa_system_sgpr_workgroup_id_y 0
		.amdhsa_system_sgpr_workgroup_id_z 0
		.amdhsa_system_sgpr_workgroup_info 0
		.amdhsa_system_vgpr_workitem_id 0
		.amdhsa_next_free_vgpr 256
		.amdhsa_next_free_sgpr 32
		.amdhsa_reserve_vcc 1
		.amdhsa_reserve_flat_scratch 0
		.amdhsa_float_round_mode_32 0
		.amdhsa_float_round_mode_16_64 0
		.amdhsa_float_denorm_mode_32 3
		.amdhsa_float_denorm_mode_16_64 3
		.amdhsa_dx10_clamp 1
		.amdhsa_ieee_mode 1
		.amdhsa_fp16_overflow 0
		.amdhsa_workgroup_processor_mode 1
		.amdhsa_memory_ordered 1
		.amdhsa_forward_progress 0
		.amdhsa_shared_vgpr_count 0
		.amdhsa_exception_fp_ieee_invalid_op 0
		.amdhsa_exception_fp_denorm_src 0
		.amdhsa_exception_fp_ieee_div_zero 0
		.amdhsa_exception_fp_ieee_overflow 0
		.amdhsa_exception_fp_ieee_underflow 0
		.amdhsa_exception_fp_ieee_inexact 0
		.amdhsa_exception_int_div_zero 0
	.end_amdhsa_kernel
	.text
.Lfunc_end0:
	.size	bluestein_single_back_len3240_dim1_dp_op_CI_CI, .Lfunc_end0-bluestein_single_back_len3240_dim1_dp_op_CI_CI
                                        ; -- End function
	.section	.AMDGPU.csdata,"",@progbits
; Kernel info:
; codeLenInByte = 49388
; NumSgprs: 34
; NumVgprs: 256
; ScratchSize: 1780
; MemoryBound: 0
; FloatMode: 240
; IeeeMode: 1
; LDSByteSize: 51840 bytes/workgroup (compile time only)
; SGPRBlocks: 4
; VGPRBlocks: 31
; NumSGPRsForWavesPerEU: 34
; NumVGPRsForWavesPerEU: 256
; Occupancy: 2
; WaveLimiterHint : 1
; COMPUTE_PGM_RSRC2:SCRATCH_EN: 1
; COMPUTE_PGM_RSRC2:USER_SGPR: 6
; COMPUTE_PGM_RSRC2:TRAP_HANDLER: 0
; COMPUTE_PGM_RSRC2:TGID_X_EN: 1
; COMPUTE_PGM_RSRC2:TGID_Y_EN: 0
; COMPUTE_PGM_RSRC2:TGID_Z_EN: 0
; COMPUTE_PGM_RSRC2:TIDIG_COMP_CNT: 0
	.text
	.p2alignl 6, 3214868480
	.fill 48, 4, 3214868480
	.type	__hip_cuid_7b95070650656ba0,@object ; @__hip_cuid_7b95070650656ba0
	.section	.bss,"aw",@nobits
	.globl	__hip_cuid_7b95070650656ba0
__hip_cuid_7b95070650656ba0:
	.byte	0                               ; 0x0
	.size	__hip_cuid_7b95070650656ba0, 1

	.ident	"AMD clang version 19.0.0git (https://github.com/RadeonOpenCompute/llvm-project roc-6.4.0 25133 c7fe45cf4b819c5991fe208aaa96edf142730f1d)"
	.section	".note.GNU-stack","",@progbits
	.addrsig
	.addrsig_sym __hip_cuid_7b95070650656ba0
	.amdgpu_metadata
---
amdhsa.kernels:
  - .args:
      - .actual_access:  read_only
        .address_space:  global
        .offset:         0
        .size:           8
        .value_kind:     global_buffer
      - .actual_access:  read_only
        .address_space:  global
        .offset:         8
        .size:           8
        .value_kind:     global_buffer
      - .actual_access:  read_only
        .address_space:  global
        .offset:         16
        .size:           8
        .value_kind:     global_buffer
      - .actual_access:  read_only
        .address_space:  global
        .offset:         24
        .size:           8
        .value_kind:     global_buffer
      - .actual_access:  read_only
        .address_space:  global
        .offset:         32
        .size:           8
        .value_kind:     global_buffer
      - .offset:         40
        .size:           8
        .value_kind:     by_value
      - .address_space:  global
        .offset:         48
        .size:           8
        .value_kind:     global_buffer
      - .address_space:  global
        .offset:         56
        .size:           8
        .value_kind:     global_buffer
      - .address_space:  global
        .offset:         64
        .size:           8
        .value_kind:     global_buffer
      - .address_space:  global
        .offset:         72
        .size:           8
        .value_kind:     global_buffer
      - .offset:         80
        .size:           4
        .value_kind:     by_value
      - .address_space:  global
        .offset:         88
        .size:           8
        .value_kind:     global_buffer
      - .address_space:  global
        .offset:         96
        .size:           8
        .value_kind:     global_buffer
    .group_segment_fixed_size: 51840
    .kernarg_segment_align: 8
    .kernarg_segment_size: 104
    .language:       OpenCL C
    .language_version:
      - 2
      - 0
    .max_flat_workgroup_size: 108
    .name:           bluestein_single_back_len3240_dim1_dp_op_CI_CI
    .private_segment_fixed_size: 1780
    .sgpr_count:     34
    .sgpr_spill_count: 0
    .symbol:         bluestein_single_back_len3240_dim1_dp_op_CI_CI.kd
    .uniform_work_group_size: 1
    .uses_dynamic_stack: false
    .vgpr_count:     256
    .vgpr_spill_count: 444
    .wavefront_size: 32
    .workgroup_processor_mode: 1
amdhsa.target:   amdgcn-amd-amdhsa--gfx1030
amdhsa.version:
  - 1
  - 2
...

	.end_amdgpu_metadata
